;; amdgpu-corpus repo=zjin-lcf/HeCBench kind=compiled arch=gfx1250 opt=O3
	.amdgcn_target "amdgcn-amd-amdhsa--gfx1250"
	.amdhsa_code_object_version 6
	.text
	.protected	_Z15test_keystreamsPKcS0_S0_PKhPhS3_S3_S3_iii ; -- Begin function _Z15test_keystreamsPKcS0_S0_PKhPhS3_S3_S3_iii
	.globl	_Z15test_keystreamsPKcS0_S0_PKhPhS3_S3_S3_iii
	.p2align	8
	.type	_Z15test_keystreamsPKcS0_S0_PKhPhS3_S3_S3_iii,@function
_Z15test_keystreamsPKcS0_S0_PKhPhS3_S3_S3_iii: ; @_Z15test_keystreamsPKcS0_S0_PKhPhS3_S3_S3_iii
; %bb.0:
	s_clause 0x2
	s_load_b96 s[8:10], s[0:1], 0x40
	s_load_b128 s[4:7], s[0:1], 0x18
	s_load_b64 s[12:13], s[0:1], 0x28
	v_mov_b32_e32 v10, v0
	s_mov_b32 s11, exec_lo
	s_wait_kmcnt 0x0
	s_lshr_b32 s2, s8, 31
	s_delay_alu instid0(SALU_CYCLE_1) | instskip(NEXT) | instid1(SALU_CYCLE_1)
	s_add_co_i32 s2, s8, s2
	s_ashr_i32 s8, s2, 1
	s_delay_alu instid0(SALU_CYCLE_1)
	v_cmpx_gt_i32_e64 s8, v0
	s_cbranch_execz .LBB0_8
; %bb.1:
	s_clause 0x1
	s_load_b32 s2, s[0:1], 0x5c
	s_load_b64 s[14:15], s[0:1], 0x0
	v_add_max_i32_e64 v1, v0, 1, s8
	s_mov_b32 s16, -1
	s_delay_alu instid0(VALU_DEP_1) | instskip(NEXT) | instid1(VALU_DEP_1)
	v_dual_mov_b32 v2, v10 :: v_dual_sub_nc_u32 v11, v1, v0
	v_cmp_lt_u32_e32 vcc_lo, 7, v11
	s_wait_kmcnt 0x0
	s_and_b32 s2, s2, 0xffff
	s_delay_alu instid0(SALU_CYCLE_1) | instskip(SKIP_1) | instid1(SALU_CYCLE_1)
	s_cmp_eq_u32 s2, 1
	s_cselect_b32 s3, -1, 0
	s_and_b32 s17, vcc_lo, s3
	s_delay_alu instid0(SALU_CYCLE_1)
	s_and_saveexec_b32 s3, s17
	s_cbranch_execz .LBB0_5
; %bb.2:
	v_dual_add_nc_u32 v7, 7, v0 :: v_dual_bitop2_b32 v14, -8, v11 bitop3:0x40
	v_dual_add_nc_u32 v6, 6, v0 :: v_dual_add_nc_u32 v5, 5, v0
	v_dual_add_nc_u32 v2, 2, v0 :: v_dual_add_nc_u32 v1, 1, v0
	;; [unrolled: 1-line block ×3, first 2 shown]
	s_delay_alu instid0(VALU_DEP_3) | instskip(NEXT) | instid1(VALU_DEP_2)
	v_mov_b64_e32 v[8:9], v[6:7]
	v_mov_b64_e32 v[6:7], v[4:5]
	s_delay_alu instid0(VALU_DEP_3)
	v_mov_b64_e32 v[4:5], v[2:3]
	v_mov_b64_e32 v[2:3], v[0:1]
	v_dual_mov_b32 v13, 0 :: v_dual_mov_b32 v15, v10
	v_mov_b32_e32 v16, v14
	s_mov_b32 s16, 0
.LBB0_3:                                ; =>This Inner Loop Header: Depth=1
	s_delay_alu instid0(VALU_DEP_4) | instskip(NEXT) | instid1(VALU_DEP_3)
	v_dual_lshlrev_b32 v26, 1, v5 :: v_dual_lshlrev_b32 v28, 1, v4
	v_dual_mov_b32 v31, v13 :: v_dual_mov_b32 v29, v13
	v_dual_mov_b32 v27, v13 :: v_dual_mov_b32 v25, v13
	v_dual_lshlrev_b32 v22, 1, v7 :: v_dual_lshlrev_b32 v24, 1, v6
	v_dual_lshlrev_b32 v18, 1, v9 :: v_dual_lshlrev_b32 v20, 1, v8
	v_dual_mov_b32 v23, v13 :: v_dual_mov_b32 v21, v13
	v_mov_b32_e32 v19, v13
	v_add_nc_u64_e32 v[28:29], s[14:15], v[28:29]
	v_dual_lshlrev_b32 v30, 1, v3 :: v_dual_lshlrev_b32 v12, 1, v2
	v_add_nc_u64_e32 v[26:27], s[14:15], v[26:27]
	v_add_nc_u64_e32 v[24:25], s[14:15], v[24:25]
	;; [unrolled: 1-line block ×7, first 2 shown]
	s_clause 0x7
	global_load_u16 v1, v[28:29], off
	global_load_u16 v12, v[26:27], off
	;; [unrolled: 1-line block ×8, first 2 shown]
	v_dual_add_nc_u32 v8, 8, v8 :: v_dual_add_nc_u32 v7, 8, v7
	v_dual_add_nc_u32 v6, 8, v6 :: v_dual_add_nc_u32 v5, 8, v5
	;; [unrolled: 1-line block ×3, first 2 shown]
	v_dual_add_nc_u32 v16, -8, v16 :: v_dual_add_nc_u32 v3, 8, v3
	v_add_nc_u32_e32 v2, 8, v2
	s_delay_alu instid0(VALU_DEP_2)
	v_cmp_eq_u32_e32 vcc_lo, 0, v16
	s_or_b32 s16, vcc_lo, s16
	s_wait_loadcnt 0x6
	v_perm_b32 v12, v12, v1, 0x5040100
	v_lshrrev_b16 v1, 8, v1
	s_wait_loadcnt 0x4
	s_wait_xcnt 0x6
	v_lshrrev_b16 v26, 8, v34
	s_wait_loadcnt 0x3
	s_wait_xcnt 0x3
	v_perm_b32 v19, v35, v34, 0x5040100
	s_wait_loadcnt 0x2
	v_perm_b32 v21, v36, v17, 0x5040100
	s_wait_loadcnt 0x1
	v_lshrrev_b16 v25, 8, v37
	s_wait_loadcnt 0x0
	s_wait_xcnt 0x2
	v_perm_b32 v23, v38, v37, 0x5040100
	s_wait_xcnt 0x0
	v_dual_lshrrev_b32 v31, 16, v12 :: v_dual_lshrrev_b32 v27, 16, v19
	v_bfe_i32 v22, v12, 0, 8
	v_dual_lshrrev_b32 v12, 24, v12 :: v_dual_lshrrev_b32 v37, 24, v21
	v_bfe_i32 v24, v23, 0, 8
	v_dual_lshrrev_b32 v29, 16, v21 :: v_dual_lshrrev_b32 v33, 16, v23
	v_lshrrev_b32_e32 v35, 24, v23
	v_bfe_i32 v32, v25, 0, 8
	v_lshrrev_b16 v17, 8, v17
	v_bfe_i32 v18, v19, 0, 8
	v_bfe_i32 v20, v21, 0, 8
	v_lshrrev_b32_e32 v39, 24, v19
	v_bfe_i32 v26, v26, 0, 8
	v_ashrrev_i32_e32 v25, 31, v24
	v_bfe_i32 v44, v37, 0, 8
	v_bfe_i32 v34, v27, 0, 8
	;; [unrolled: 1-line block ×4, first 2 shown]
	v_ashrrev_i32_e32 v33, 31, v32
	v_bfe_i32 v28, v17, 0, 8
	v_bfe_i32 v30, v1, 0, 8
	v_dual_ashrrev_i32 v19, 31, v18 :: v_dual_ashrrev_i32 v21, 31, v20
	v_ashrrev_i32_e32 v23, 31, v22
	v_bfe_i32 v38, v31, 0, 8
	v_bfe_i32 v42, v39, 0, 8
	;; [unrolled: 1-line block ×4, first 2 shown]
	v_ashrrev_i32_e32 v27, 31, v26
	v_add_nc_u64_e32 v[24:25], s[4:5], v[24:25]
	s_delay_alu instid0(VALU_DEP_4)
	v_dual_ashrrev_i32 v45, 31, v44 :: v_dual_ashrrev_i32 v47, 31, v46
	v_dual_ashrrev_i32 v35, 31, v34 :: v_dual_ashrrev_i32 v37, 31, v36
	v_ashrrev_i32_e32 v39, 31, v38
	v_add_nc_u64_e32 v[32:33], s[4:5], v[32:33]
	v_dual_ashrrev_i32 v29, 31, v28 :: v_dual_ashrrev_i32 v31, 31, v30
	v_dual_ashrrev_i32 v41, 31, v40 :: v_dual_ashrrev_i32 v43, 31, v42
	v_add_nc_u64_e32 v[22:23], s[4:5], v[22:23]
	v_ashrrev_i32_e32 v49, 31, v48
	v_add_nc_u64_e32 v[18:19], s[4:5], v[18:19]
	v_add_nc_u64_e32 v[20:21], s[4:5], v[20:21]
	;; [unrolled: 1-line block ×13, first 2 shown]
	s_clause 0xf
	global_load_u8 v1, v[24:25], off
	global_load_u8 v12, v[32:33], off
	;; [unrolled: 1-line block ×15, first 2 shown]
	; meta instruction
	; meta instruction
	; meta instruction
	; meta instruction
	; meta instruction
	; meta instruction
	; meta instruction
	; meta instruction
	; meta instruction
	; meta instruction
	; meta instruction
	; meta instruction
	; meta instruction
	; meta instruction
	; meta instruction
	global_load_u8 v18, v[30:31], off
	s_wait_loadcnt 0xf
	v_lshlrev_b16 v1, 4, v1
	s_wait_loadcnt 0xd
	v_lshlrev_b16 v17, 4, v17
	;; [unrolled: 2-line block ×3, first 2 shown]
	s_wait_loadcnt 0xb
	s_wait_xcnt 0xb
	v_lshlrev_b16 v20, 4, v51
	s_wait_loadcnt 0xa
	v_lshlrev_b16 v21, 8, v52
	s_wait_loadcnt 0x9
	;; [unrolled: 2-line block ×6, first 2 shown]
	s_wait_xcnt 0x1
	v_lshlrev_b16 v26, 12, v57
	s_wait_loadcnt 0x4
	v_lshlrev_b16 v27, 8, v58
	s_wait_loadcnt 0x3
	v_lshlrev_b16 v28, 12, v59
	v_and_b32_e32 v1, 0xf0, v1
	v_and_b32_e32 v17, 0xf0, v17
	v_or_b32_e32 v21, v22, v21
	v_or_b32_e32 v22, v24, v23
	;; [unrolled: 1-line block ×4, first 2 shown]
	v_and_b32_e32 v19, 0xf0, v19
	v_and_b32_e32 v20, 0xf0, v20
	s_delay_alu instid0(VALU_DEP_4) | instskip(NEXT) | instid1(VALU_DEP_1)
	v_bitop3_b16 v1, v12, v23, v1 bitop3:0xfe
	v_and_b32_e32 v1, 0xffff, v1
	s_wait_loadcnt 0x0
	v_bitop3_b16 v12, v18, v24, v17 bitop3:0xfe
	s_delay_alu instid0(VALU_DEP_1) | instskip(SKIP_1) | instid1(VALU_DEP_1)
	v_lshlrev_b32_e32 v12, 16, v12
	v_bitop3_b16 v19, v61, v22, v19 bitop3:0xfe
	v_lshlrev_b32_e32 v18, 16, v19
	v_bitop3_b16 v20, v60, v21, v20 bitop3:0xfe
	s_delay_alu instid0(VALU_DEP_1) | instskip(NEXT) | instid1(VALU_DEP_1)
	v_and_b32_e32 v17, 0xffff, v20
	v_or_b32_e32 v19, v17, v18
	v_or_b32_e32 v18, v1, v12
	global_store_b64 v15, v[18:19], s[6:7]
	s_wait_xcnt 0x0
	v_add_nc_u32_e32 v15, 8, v15
	s_and_not1_b32 exec_lo, exec_lo, s16
	s_cbranch_execnz .LBB0_3
; %bb.4:
	s_or_b32 exec_lo, exec_lo, s16
	v_cmp_ne_u32_e32 vcc_lo, v11, v14
	v_add_nc_u32_e32 v2, v0, v14
	s_or_not1_b32 s16, vcc_lo, exec_lo
.LBB0_5:
	s_or_b32 exec_lo, exec_lo, s3
	s_delay_alu instid0(SALU_CYCLE_1)
	s_and_b32 exec_lo, exec_lo, s16
	s_cbranch_execz .LBB0_8
; %bb.6:
	v_dual_mov_b32 v3, 0 :: v_dual_lshlrev_b32 v4, 1, v2
	s_mov_b32 s3, 0
	s_delay_alu instid0(SALU_CYCLE_1) | instskip(NEXT) | instid1(VALU_DEP_1)
	s_mov_b32 s16, s3
	v_mov_b32_e32 v5, v3
	s_delay_alu instid0(VALU_DEP_1) | instskip(SKIP_2) | instid1(VALU_DEP_1)
	v_add_nc_u64_e32 v[4:5], s[14:15], v[4:5]
	s_lshl_b32 s14, s2, 1
	s_mov_b32 s15, s3
	v_add_nc_u64_e32 v[4:5], 1, v[4:5]
.LBB0_7:                                ; =>This Inner Loop Header: Depth=1
	global_load_u16 v1, v[4:5], off offset:-1
	s_wait_xcnt 0x0
	v_add_nc_u64_e32 v[4:5], s[14:15], v[4:5]
	s_wait_loadcnt 0x0
	v_bfe_i32 v6, v1, 0, 8
	v_lshrrev_b16 v1, 8, v1
	s_delay_alu instid0(VALU_DEP_1) | instskip(NEXT) | instid1(VALU_DEP_1)
	v_bfe_i32 v8, v1, 0, 8
	v_dual_ashrrev_i32 v7, 31, v6 :: v_dual_ashrrev_i32 v9, 31, v8
	s_delay_alu instid0(VALU_DEP_1) | instskip(NEXT) | instid1(VALU_DEP_2)
	v_add_nc_u64_e32 v[6:7], s[4:5], v[6:7]
	v_add_nc_u64_e32 v[8:9], s[4:5], v[8:9]
	s_clause 0x1
	global_load_u8 v1, v[6:7], off
	global_load_u8 v11, v[8:9], off
	s_wait_xcnt 0x1
	v_add_nc_u64_e32 v[6:7], s[6:7], v[2:3]
	v_add_nc_u64_e32 v[2:3], s[2:3], v[2:3]
	s_delay_alu instid0(VALU_DEP_1) | instskip(SKIP_4) | instid1(VALU_DEP_1)
	v_cmp_le_i32_e32 vcc_lo, s8, v2
	s_or_b32 s16, vcc_lo, s16
	s_wait_loadcnt 0x1
	v_lshlrev_b16 v1, 4, v1
	s_wait_loadcnt 0x0
	v_or_b32_e32 v1, v11, v1
	global_store_b8 v[6:7], v1, off
	s_wait_xcnt 0x0
	s_and_not1_b32 exec_lo, exec_lo, s16
	s_cbranch_execnz .LBB0_7
.LBB0_8:
	s_or_b32 exec_lo, exec_lo, s11
	s_lshr_b32 s2, s9, 31
	s_mov_b32 s14, exec_lo
	s_add_co_i32 s2, s9, s2
	s_delay_alu instid0(SALU_CYCLE_1) | instskip(NEXT) | instid1(SALU_CYCLE_1)
	s_ashr_i32 s11, s2, 1
	v_cmpx_gt_i32_e64 s11, v0
	s_cbranch_execz .LBB0_16
; %bb.9:
	s_clause 0x1
	s_load_b32 s2, s[0:1], 0x5c
	s_load_b64 s[8:9], s[0:1], 0x8
	v_add_max_i32_e64 v1, v0, 1, s11
	s_mov_b32 s15, -1
	s_delay_alu instid0(VALU_DEP_1) | instskip(NEXT) | instid1(VALU_DEP_1)
	v_dual_mov_b32 v2, v10 :: v_dual_sub_nc_u32 v11, v1, v0
	v_cmp_lt_u32_e32 vcc_lo, 7, v11
	s_wait_kmcnt 0x0
	s_and_b32 s2, s2, 0xffff
	s_delay_alu instid0(SALU_CYCLE_1) | instskip(SKIP_1) | instid1(SALU_CYCLE_1)
	s_cmp_eq_u32 s2, 1
	s_cselect_b32 s3, -1, 0
	s_and_b32 s16, vcc_lo, s3
	s_delay_alu instid0(SALU_CYCLE_1)
	s_and_saveexec_b32 s3, s16
	s_cbranch_execz .LBB0_13
; %bb.10:
	v_dual_add_nc_u32 v7, 7, v0 :: v_dual_bitop2_b32 v14, -8, v11 bitop3:0x40
	v_dual_add_nc_u32 v6, 6, v0 :: v_dual_add_nc_u32 v5, 5, v0
	v_dual_add_nc_u32 v2, 2, v0 :: v_dual_add_nc_u32 v1, 1, v0
	;; [unrolled: 1-line block ×3, first 2 shown]
	s_delay_alu instid0(VALU_DEP_3) | instskip(NEXT) | instid1(VALU_DEP_2)
	v_mov_b64_e32 v[8:9], v[6:7]
	v_mov_b64_e32 v[6:7], v[4:5]
	s_delay_alu instid0(VALU_DEP_3)
	v_mov_b64_e32 v[4:5], v[2:3]
	v_mov_b64_e32 v[2:3], v[0:1]
	v_dual_mov_b32 v13, 0 :: v_dual_mov_b32 v15, v10
	v_mov_b32_e32 v16, v14
	s_mov_b32 s15, 0
.LBB0_11:                               ; =>This Inner Loop Header: Depth=1
	s_delay_alu instid0(VALU_DEP_4) | instskip(NEXT) | instid1(VALU_DEP_3)
	v_dual_lshlrev_b32 v26, 1, v5 :: v_dual_lshlrev_b32 v28, 1, v4
	v_dual_mov_b32 v31, v13 :: v_dual_mov_b32 v29, v13
	v_dual_mov_b32 v27, v13 :: v_dual_mov_b32 v25, v13
	v_dual_lshlrev_b32 v22, 1, v7 :: v_dual_lshlrev_b32 v24, 1, v6
	v_dual_lshlrev_b32 v18, 1, v9 :: v_dual_lshlrev_b32 v20, 1, v8
	v_dual_mov_b32 v23, v13 :: v_dual_mov_b32 v21, v13
	v_mov_b32_e32 v19, v13
	v_add_nc_u64_e32 v[28:29], s[8:9], v[28:29]
	v_dual_lshlrev_b32 v30, 1, v3 :: v_dual_lshlrev_b32 v12, 1, v2
	v_add_nc_u64_e32 v[26:27], s[8:9], v[26:27]
	v_add_nc_u64_e32 v[24:25], s[8:9], v[24:25]
	;; [unrolled: 1-line block ×7, first 2 shown]
	s_clause 0x7
	global_load_u16 v1, v[28:29], off
	global_load_u16 v12, v[26:27], off
	;; [unrolled: 1-line block ×8, first 2 shown]
	v_dual_add_nc_u32 v8, 8, v8 :: v_dual_add_nc_u32 v7, 8, v7
	v_dual_add_nc_u32 v6, 8, v6 :: v_dual_add_nc_u32 v5, 8, v5
	;; [unrolled: 1-line block ×3, first 2 shown]
	v_dual_add_nc_u32 v16, -8, v16 :: v_dual_add_nc_u32 v3, 8, v3
	v_add_nc_u32_e32 v2, 8, v2
	s_delay_alu instid0(VALU_DEP_2)
	v_cmp_eq_u32_e32 vcc_lo, 0, v16
	s_or_b32 s15, vcc_lo, s15
	s_wait_loadcnt 0x6
	v_perm_b32 v12, v12, v1, 0x5040100
	v_lshrrev_b16 v1, 8, v1
	s_wait_loadcnt 0x4
	s_wait_xcnt 0x6
	v_lshrrev_b16 v26, 8, v34
	s_wait_loadcnt 0x3
	s_wait_xcnt 0x3
	v_perm_b32 v19, v35, v34, 0x5040100
	s_wait_loadcnt 0x2
	v_perm_b32 v21, v36, v17, 0x5040100
	s_wait_loadcnt 0x1
	v_lshrrev_b16 v25, 8, v37
	s_wait_loadcnt 0x0
	s_wait_xcnt 0x2
	v_perm_b32 v23, v38, v37, 0x5040100
	s_wait_xcnt 0x0
	v_dual_lshrrev_b32 v31, 16, v12 :: v_dual_lshrrev_b32 v27, 16, v19
	v_bfe_i32 v22, v12, 0, 8
	v_dual_lshrrev_b32 v12, 24, v12 :: v_dual_lshrrev_b32 v37, 24, v21
	v_bfe_i32 v24, v23, 0, 8
	v_dual_lshrrev_b32 v29, 16, v21 :: v_dual_lshrrev_b32 v33, 16, v23
	v_lshrrev_b32_e32 v35, 24, v23
	v_bfe_i32 v32, v25, 0, 8
	v_lshrrev_b16 v17, 8, v17
	v_bfe_i32 v18, v19, 0, 8
	v_bfe_i32 v20, v21, 0, 8
	v_lshrrev_b32_e32 v39, 24, v19
	v_bfe_i32 v26, v26, 0, 8
	v_ashrrev_i32_e32 v25, 31, v24
	v_bfe_i32 v44, v37, 0, 8
	v_bfe_i32 v34, v27, 0, 8
	;; [unrolled: 1-line block ×4, first 2 shown]
	v_ashrrev_i32_e32 v33, 31, v32
	v_bfe_i32 v28, v17, 0, 8
	v_bfe_i32 v30, v1, 0, 8
	v_dual_ashrrev_i32 v19, 31, v18 :: v_dual_ashrrev_i32 v21, 31, v20
	v_ashrrev_i32_e32 v23, 31, v22
	v_bfe_i32 v38, v31, 0, 8
	v_bfe_i32 v42, v39, 0, 8
	;; [unrolled: 1-line block ×4, first 2 shown]
	v_ashrrev_i32_e32 v27, 31, v26
	v_add_nc_u64_e32 v[24:25], s[4:5], v[24:25]
	s_delay_alu instid0(VALU_DEP_4)
	v_dual_ashrrev_i32 v45, 31, v44 :: v_dual_ashrrev_i32 v47, 31, v46
	v_dual_ashrrev_i32 v35, 31, v34 :: v_dual_ashrrev_i32 v37, 31, v36
	v_ashrrev_i32_e32 v39, 31, v38
	v_add_nc_u64_e32 v[32:33], s[4:5], v[32:33]
	v_dual_ashrrev_i32 v29, 31, v28 :: v_dual_ashrrev_i32 v31, 31, v30
	v_dual_ashrrev_i32 v41, 31, v40 :: v_dual_ashrrev_i32 v43, 31, v42
	v_add_nc_u64_e32 v[22:23], s[4:5], v[22:23]
	v_ashrrev_i32_e32 v49, 31, v48
	v_add_nc_u64_e32 v[18:19], s[4:5], v[18:19]
	v_add_nc_u64_e32 v[20:21], s[4:5], v[20:21]
	;; [unrolled: 1-line block ×13, first 2 shown]
	s_clause 0xf
	global_load_u8 v1, v[24:25], off
	global_load_u8 v12, v[32:33], off
	;; [unrolled: 1-line block ×15, first 2 shown]
	; meta instruction
	; meta instruction
	;; [unrolled: 1-line block ×15, first 2 shown]
	global_load_u8 v18, v[30:31], off
	s_wait_loadcnt 0xf
	v_lshlrev_b16 v1, 4, v1
	s_wait_loadcnt 0xd
	v_lshlrev_b16 v17, 4, v17
	;; [unrolled: 2-line block ×3, first 2 shown]
	s_wait_loadcnt 0xb
	s_wait_xcnt 0xb
	v_lshlrev_b16 v20, 4, v51
	s_wait_loadcnt 0xa
	v_lshlrev_b16 v21, 8, v52
	s_wait_loadcnt 0x9
	v_lshlrev_b16 v22, 12, v53
	s_wait_loadcnt 0x8
	v_lshlrev_b16 v23, 8, v54
	s_wait_loadcnt 0x7
	v_lshlrev_b16 v24, 12, v55
	s_wait_loadcnt 0x6
	v_lshlrev_b16 v25, 8, v56
	s_wait_loadcnt 0x5
	s_wait_xcnt 0x1
	v_lshlrev_b16 v26, 12, v57
	s_wait_loadcnt 0x4
	v_lshlrev_b16 v27, 8, v58
	s_wait_loadcnt 0x3
	v_lshlrev_b16 v28, 12, v59
	v_and_b32_e32 v1, 0xf0, v1
	v_and_b32_e32 v17, 0xf0, v17
	v_or_b32_e32 v21, v22, v21
	v_or_b32_e32 v22, v24, v23
	;; [unrolled: 1-line block ×4, first 2 shown]
	v_and_b32_e32 v19, 0xf0, v19
	v_and_b32_e32 v20, 0xf0, v20
	s_delay_alu instid0(VALU_DEP_4) | instskip(NEXT) | instid1(VALU_DEP_1)
	v_bitop3_b16 v1, v12, v23, v1 bitop3:0xfe
	v_and_b32_e32 v1, 0xffff, v1
	s_wait_loadcnt 0x0
	v_bitop3_b16 v12, v18, v24, v17 bitop3:0xfe
	s_delay_alu instid0(VALU_DEP_1) | instskip(SKIP_1) | instid1(VALU_DEP_1)
	v_lshlrev_b32_e32 v12, 16, v12
	v_bitop3_b16 v19, v61, v22, v19 bitop3:0xfe
	v_lshlrev_b32_e32 v18, 16, v19
	v_bitop3_b16 v20, v60, v21, v20 bitop3:0xfe
	s_delay_alu instid0(VALU_DEP_1) | instskip(NEXT) | instid1(VALU_DEP_1)
	v_and_b32_e32 v17, 0xffff, v20
	v_or_b32_e32 v19, v17, v18
	v_or_b32_e32 v18, v1, v12
	global_store_b64 v15, v[18:19], s[12:13]
	s_wait_xcnt 0x0
	v_add_nc_u32_e32 v15, 8, v15
	s_and_not1_b32 exec_lo, exec_lo, s15
	s_cbranch_execnz .LBB0_11
; %bb.12:
	s_or_b32 exec_lo, exec_lo, s15
	v_cmp_ne_u32_e32 vcc_lo, v11, v14
	v_add_nc_u32_e32 v2, v0, v14
	s_or_not1_b32 s15, vcc_lo, exec_lo
.LBB0_13:
	s_or_b32 exec_lo, exec_lo, s3
	s_delay_alu instid0(SALU_CYCLE_1)
	s_and_b32 exec_lo, exec_lo, s15
	s_cbranch_execz .LBB0_16
; %bb.14:
	v_dual_mov_b32 v3, 0 :: v_dual_lshlrev_b32 v4, 1, v2
	s_mov_b32 s3, 0
	s_delay_alu instid0(SALU_CYCLE_1) | instskip(NEXT) | instid1(VALU_DEP_1)
	s_mov_b32 s15, s3
	v_mov_b32_e32 v5, v3
	s_delay_alu instid0(VALU_DEP_1) | instskip(SKIP_2) | instid1(VALU_DEP_1)
	v_add_nc_u64_e32 v[4:5], s[8:9], v[4:5]
	s_lshl_b32 s8, s2, 1
	s_mov_b32 s9, s3
	v_add_nc_u64_e32 v[4:5], 1, v[4:5]
.LBB0_15:                               ; =>This Inner Loop Header: Depth=1
	global_load_u16 v1, v[4:5], off offset:-1
	s_wait_xcnt 0x0
	v_add_nc_u64_e32 v[4:5], s[8:9], v[4:5]
	s_wait_loadcnt 0x0
	v_bfe_i32 v6, v1, 0, 8
	v_lshrrev_b16 v1, 8, v1
	s_delay_alu instid0(VALU_DEP_1) | instskip(NEXT) | instid1(VALU_DEP_1)
	v_bfe_i32 v8, v1, 0, 8
	v_dual_ashrrev_i32 v7, 31, v6 :: v_dual_ashrrev_i32 v9, 31, v8
	s_delay_alu instid0(VALU_DEP_1) | instskip(NEXT) | instid1(VALU_DEP_2)
	v_add_nc_u64_e32 v[6:7], s[4:5], v[6:7]
	v_add_nc_u64_e32 v[8:9], s[4:5], v[8:9]
	s_clause 0x1
	global_load_u8 v1, v[6:7], off
	global_load_u8 v11, v[8:9], off
	s_wait_xcnt 0x1
	v_add_nc_u64_e32 v[6:7], s[12:13], v[2:3]
	v_add_nc_u64_e32 v[2:3], s[2:3], v[2:3]
	s_delay_alu instid0(VALU_DEP_1) | instskip(SKIP_4) | instid1(VALU_DEP_1)
	v_cmp_le_i32_e32 vcc_lo, s11, v2
	s_or_b32 s15, vcc_lo, s15
	s_wait_loadcnt 0x1
	v_lshlrev_b16 v1, 4, v1
	s_wait_loadcnt 0x0
	v_or_b32_e32 v1, v11, v1
	global_store_b8 v[6:7], v1, off
	s_wait_xcnt 0x0
	s_and_not1_b32 exec_lo, exec_lo, s15
	s_cbranch_execnz .LBB0_15
.LBB0_16:
	s_or_b32 exec_lo, exec_lo, s14
	s_lshr_b32 s2, s10, 31
	s_mov_b32 s3, exec_lo
	s_add_co_i32 s2, s10, s2
	s_delay_alu instid0(SALU_CYCLE_1) | instskip(NEXT) | instid1(SALU_CYCLE_1)
	s_ashr_i32 s2, s2, 1
	v_cmpx_gt_i32_e64 s2, v0
	s_cbranch_execz .LBB0_24
; %bb.17:
	s_clause 0x2
	s_load_b32 s11, s[0:1], 0x5c
	s_load_b64 s[8:9], s[0:1], 0x30
	s_load_b64 s[16:17], s[0:1], 0x10
	v_add_max_i32_e64 v1, v0, 1, s2
	s_mov_b32 s15, -1
	s_delay_alu instid0(VALU_DEP_1) | instskip(NEXT) | instid1(VALU_DEP_1)
	v_sub_nc_u32_e32 v11, v1, v0
	v_cmp_lt_u32_e32 vcc_lo, 7, v11
	s_wait_kmcnt 0x0
	s_and_b32 s14, s11, 0xffff
	s_delay_alu instid0(SALU_CYCLE_1) | instskip(SKIP_1) | instid1(SALU_CYCLE_1)
	s_cmp_eq_u32 s14, 1
	s_cselect_b32 s11, -1, 0
	s_and_b32 s18, vcc_lo, s11
	s_delay_alu instid0(SALU_CYCLE_1)
	s_and_saveexec_b32 s11, s18
	s_cbranch_execz .LBB0_21
; %bb.18:
	v_dual_add_nc_u32 v7, 7, v0 :: v_dual_bitop2_b32 v14, -8, v11 bitop3:0x40
	v_dual_add_nc_u32 v6, 6, v0 :: v_dual_add_nc_u32 v5, 5, v0
	v_dual_add_nc_u32 v2, 2, v0 :: v_dual_add_nc_u32 v1, 1, v0
	;; [unrolled: 1-line block ×3, first 2 shown]
	s_delay_alu instid0(VALU_DEP_3) | instskip(NEXT) | instid1(VALU_DEP_2)
	v_mov_b64_e32 v[8:9], v[6:7]
	v_mov_b64_e32 v[6:7], v[4:5]
	s_delay_alu instid0(VALU_DEP_3)
	v_mov_b64_e32 v[4:5], v[2:3]
	v_mov_b64_e32 v[2:3], v[0:1]
	v_dual_mov_b32 v13, 0 :: v_dual_mov_b32 v15, v14
	s_mov_b32 s15, 0
.LBB0_19:                               ; =>This Inner Loop Header: Depth=1
	s_delay_alu instid0(VALU_DEP_3) | instskip(NEXT) | instid1(VALU_DEP_2)
	v_dual_lshlrev_b32 v24, 1, v5 :: v_dual_lshlrev_b32 v26, 1, v4
	v_dual_mov_b32 v29, v13 :: v_dual_mov_b32 v27, v13
	v_dual_mov_b32 v25, v13 :: v_dual_mov_b32 v23, v13
	v_dual_lshlrev_b32 v20, 1, v7 :: v_dual_lshlrev_b32 v22, 1, v6
	v_dual_lshlrev_b32 v16, 1, v9 :: v_dual_lshlrev_b32 v18, 1, v8
	v_dual_mov_b32 v21, v13 :: v_dual_mov_b32 v19, v13
	v_mov_b32_e32 v17, v13
	v_add_nc_u64_e32 v[26:27], s[16:17], v[26:27]
	v_dual_lshlrev_b32 v28, 1, v3 :: v_dual_lshlrev_b32 v12, 1, v2
	v_add_nc_u64_e32 v[24:25], s[16:17], v[24:25]
	v_add_nc_u64_e32 v[22:23], s[16:17], v[22:23]
	;; [unrolled: 1-line block ×7, first 2 shown]
	s_clause 0x7
	global_load_u16 v1, v[26:27], off
	global_load_u16 v12, v[24:25], off
	;; [unrolled: 1-line block ×8, first 2 shown]
	v_dual_add_nc_u32 v8, 8, v8 :: v_dual_add_nc_u32 v7, 8, v7
	v_dual_add_nc_u32 v6, 8, v6 :: v_dual_add_nc_u32 v5, 8, v5
	v_dual_add_nc_u32 v9, 8, v9 :: v_dual_add_nc_u32 v15, -8, v15
	v_dual_add_nc_u32 v4, 8, v4 :: v_dual_add_nc_u32 v3, 8, v3
	v_add_nc_u32_e32 v2, 8, v2
	s_delay_alu instid0(VALU_DEP_3)
	v_cmp_eq_u32_e32 vcc_lo, 0, v15
	s_or_b32 s15, vcc_lo, s15
	s_wait_loadcnt 0x6
	v_perm_b32 v12, v12, v1, 0x5040100
	v_lshrrev_b16 v1, 8, v1
	s_wait_loadcnt 0x4
	s_wait_xcnt 0x6
	v_lshrrev_b16 v24, 8, v33
	s_wait_loadcnt 0x3
	s_wait_xcnt 0x3
	v_perm_b32 v17, v34, v33, 0x5040100
	s_wait_loadcnt 0x2
	v_perm_b32 v19, v35, v32, 0x5040100
	s_wait_loadcnt 0x1
	v_lshrrev_b16 v23, 8, v36
	s_wait_loadcnt 0x0
	s_wait_xcnt 0x2
	v_perm_b32 v21, v37, v36, 0x5040100
	s_wait_xcnt 0x1
	v_dual_lshrrev_b32 v31, 16, v12 :: v_dual_lshrrev_b32 v27, 16, v17
	v_bfe_i32 v20, v12, 0, 8
	v_dual_lshrrev_b32 v12, 24, v12 :: v_dual_lshrrev_b32 v37, 24, v19
	v_bfe_i32 v22, v21, 0, 8
	s_wait_xcnt 0x0
	v_lshrrev_b32_e32 v29, 16, v19
	v_bfe_i32 v30, v23, 0, 8
	v_lshrrev_b16 v25, 8, v32
	v_bfe_i32 v16, v17, 0, 8
	v_bfe_i32 v18, v19, 0, 8
	v_dual_lshrrev_b32 v33, 16, v21 :: v_dual_lshrrev_b32 v35, 24, v21
	s_delay_alu instid0(VALU_DEP_3)
	v_dual_lshrrev_b32 v39, 24, v17 :: v_dual_ashrrev_i32 v17, 31, v16
	v_bfe_i32 v24, v24, 0, 8
	v_ashrrev_i32_e32 v23, 31, v22
	v_bfe_i32 v42, v37, 0, 8
	v_bfe_i32 v32, v27, 0, 8
	;; [unrolled: 1-line block ×4, first 2 shown]
	v_ashrrev_i32_e32 v31, 31, v30
	v_bfe_i32 v26, v25, 0, 8
	v_bfe_i32 v28, v1, 0, 8
	v_dual_ashrrev_i32 v19, 31, v18 :: v_dual_ashrrev_i32 v21, 31, v20
	v_bfe_i32 v38, v33, 0, 8
	v_bfe_i32 v40, v39, 0, 8
	;; [unrolled: 1-line block ×4, first 2 shown]
	v_ashrrev_i32_e32 v25, 31, v24
	v_add_nc_u64_e32 v[22:23], s[4:5], v[22:23]
	s_delay_alu instid0(VALU_DEP_4)
	v_dual_ashrrev_i32 v43, 31, v42 :: v_dual_ashrrev_i32 v45, 31, v44
	v_dual_ashrrev_i32 v33, 31, v32 :: v_dual_ashrrev_i32 v35, 31, v34
	v_ashrrev_i32_e32 v37, 31, v36
	v_add_nc_u64_e32 v[30:31], s[4:5], v[30:31]
	v_dual_ashrrev_i32 v27, 31, v26 :: v_dual_ashrrev_i32 v29, 31, v28
	v_dual_ashrrev_i32 v39, 31, v38 :: v_dual_ashrrev_i32 v41, 31, v40
	v_add_nc_u64_e32 v[20:21], s[4:5], v[20:21]
	v_ashrrev_i32_e32 v47, 31, v46
	v_add_nc_u64_e32 v[16:17], s[4:5], v[16:17]
	v_add_nc_u64_e32 v[18:19], s[4:5], v[18:19]
	;; [unrolled: 1-line block ×13, first 2 shown]
	s_clause 0xf
	global_load_u8 v1, v[22:23], off
	global_load_u8 v12, v[30:31], off
	;; [unrolled: 1-line block ×15, first 2 shown]
	; meta instruction
	; meta instruction
	;; [unrolled: 1-line block ×15, first 2 shown]
	global_load_u8 v16, v[28:29], off
	s_wait_loadcnt 0xf
	v_lshlrev_b16 v1, 4, v1
	s_wait_loadcnt 0xd
	v_lshlrev_b16 v17, 4, v48
	s_wait_loadcnt 0xc
	s_wait_xcnt 0xb
	v_lshlrev_b16 v18, 4, v49
	s_wait_loadcnt 0xb
	v_lshlrev_b16 v19, 4, v50
	s_wait_loadcnt 0xa
	;; [unrolled: 2-line block ×6, first 2 shown]
	s_wait_xcnt 0x1
	v_lshlrev_b16 v24, 8, v55
	s_wait_loadcnt 0x5
	v_lshlrev_b16 v25, 12, v56
	s_wait_loadcnt 0x4
	;; [unrolled: 2-line block ×3, first 2 shown]
	v_lshlrev_b16 v27, 12, v58
	v_and_b32_e32 v1, 0xf0, v1
	v_and_b32_e32 v17, 0xf0, v17
	v_or_b32_e32 v20, v21, v20
	v_or_b32_e32 v21, v23, v22
	;; [unrolled: 1-line block ×4, first 2 shown]
	v_and_b32_e32 v18, 0xf0, v18
	v_and_b32_e32 v19, 0xf0, v19
	s_delay_alu instid0(VALU_DEP_4) | instskip(NEXT) | instid1(VALU_DEP_1)
	v_bitop3_b16 v1, v12, v22, v1 bitop3:0xfe
	v_and_b32_e32 v1, 0xffff, v1
	s_wait_loadcnt 0x0
	v_bitop3_b16 v12, v16, v23, v17 bitop3:0xfe
	s_delay_alu instid0(VALU_DEP_1) | instskip(SKIP_1) | instid1(VALU_DEP_1)
	v_lshlrev_b32_e32 v12, 16, v12
	v_bitop3_b16 v18, v60, v21, v18 bitop3:0xfe
	v_lshlrev_b32_e32 v17, 16, v18
	v_bitop3_b16 v19, v59, v20, v19 bitop3:0xfe
	s_delay_alu instid0(VALU_DEP_1) | instskip(NEXT) | instid1(VALU_DEP_1)
	v_and_b32_e32 v16, 0xffff, v19
	v_or_b32_e32 v17, v16, v17
	v_or_b32_e32 v16, v1, v12
	global_store_b64 v10, v[16:17], s[8:9]
	s_wait_xcnt 0x0
	v_add_nc_u32_e32 v10, 8, v10
	s_and_not1_b32 exec_lo, exec_lo, s15
	s_cbranch_execnz .LBB0_19
; %bb.20:
	s_or_b32 exec_lo, exec_lo, s15
	v_cmp_ne_u32_e32 vcc_lo, v11, v14
	v_add_nc_u32_e32 v10, v0, v14
	s_or_not1_b32 s15, vcc_lo, exec_lo
.LBB0_21:
	s_or_b32 exec_lo, exec_lo, s11
	s_delay_alu instid0(SALU_CYCLE_1)
	s_and_b32 exec_lo, exec_lo, s15
	s_cbranch_execz .LBB0_24
; %bb.22:
	v_dual_mov_b32 v11, 0 :: v_dual_lshlrev_b32 v2, 1, v10
	s_mov_b32 s15, 0
	s_delay_alu instid0(SALU_CYCLE_1) | instskip(NEXT) | instid1(VALU_DEP_1)
	s_mov_b32 s11, s15
	v_mov_b32_e32 v3, v11
	s_delay_alu instid0(VALU_DEP_1) | instskip(SKIP_2) | instid1(VALU_DEP_1)
	v_add_nc_u64_e32 v[2:3], s[16:17], v[2:3]
	s_lshl_b32 s16, s14, 1
	s_mov_b32 s17, s15
	v_add_nc_u64_e32 v[2:3], 1, v[2:3]
.LBB0_23:                               ; =>This Inner Loop Header: Depth=1
	global_load_u16 v1, v[2:3], off offset:-1
	s_wait_xcnt 0x0
	v_add_nc_u64_e32 v[2:3], s[16:17], v[2:3]
	s_wait_loadcnt 0x0
	v_bfe_i32 v4, v1, 0, 8
	v_lshrrev_b16 v1, 8, v1
	s_delay_alu instid0(VALU_DEP_1) | instskip(NEXT) | instid1(VALU_DEP_1)
	v_bfe_i32 v6, v1, 0, 8
	v_dual_ashrrev_i32 v5, 31, v4 :: v_dual_ashrrev_i32 v7, 31, v6
	s_delay_alu instid0(VALU_DEP_1) | instskip(NEXT) | instid1(VALU_DEP_2)
	v_add_nc_u64_e32 v[4:5], s[4:5], v[4:5]
	v_add_nc_u64_e32 v[6:7], s[4:5], v[6:7]
	s_clause 0x1
	global_load_u8 v1, v[4:5], off
	global_load_u8 v8, v[6:7], off
	s_wait_xcnt 0x1
	v_add_nc_u64_e32 v[4:5], s[8:9], v[10:11]
	v_add_nc_u64_e32 v[10:11], s[14:15], v[10:11]
	s_delay_alu instid0(VALU_DEP_1) | instskip(SKIP_4) | instid1(VALU_DEP_1)
	v_cmp_le_i32_e32 vcc_lo, s2, v10
	s_or_b32 s11, vcc_lo, s11
	s_wait_loadcnt 0x1
	v_lshlrev_b16 v1, 4, v1
	s_wait_loadcnt 0x0
	v_or_b32_e32 v1, v8, v1
	global_store_b8 v[4:5], v1, off
	s_wait_xcnt 0x0
	s_and_not1_b32 exec_lo, exec_lo, s11
	s_cbranch_execnz .LBB0_23
.LBB0_24:
	s_or_b32 exec_lo, exec_lo, s3
	s_delay_alu instid0(SALU_CYCLE_1)
	s_mov_b32 s3, exec_lo
	v_cmpx_eq_u32_e32 0, v0
	s_cbranch_execz .LBB0_32
; %bb.25:
	v_mov_b64_e32 v[0:1], 64
	s_add_co_i32 s3, s10, 1
	s_delay_alu instid0(SALU_CYCLE_1)
	s_cmp_lt_u32 s3, 3
	scratch_store_b64 off, v[0:1], off offset:128
	s_cbranch_scc1 .LBB0_32
; %bb.26:
	v_mov_b32_e32 v11, 0
	s_load_b64 s[0:1], s[0:1], 0x38
	s_ashr_i32 s3, s2, 31
	s_mov_b64 s[4:5], 64
	s_clause 0x2
	global_load_b128 v[0:3], v11, s[6:7]
	global_load_b64 v[12:13], v11, s[12:13]
	global_load_b128 v[4:7], v11, s[6:7] offset:16
	s_wait_xcnt 0x0
	s_mov_b32 s6, 0
	s_mov_b32 s7, 0
	s_wait_loadcnt 0x2
	v_dual_mov_b32 v24, 0 :: v_dual_add_nc_u32 v9, 0x79622d32, v2
	v_add_nc_u32_e32 v8, 0x6b206574, v3
	v_add_nc_u32_e32 v21, 0x61707865, v0
	s_wait_loadcnt 0x1
	s_delay_alu instid0(VALU_DEP_3) | instskip(NEXT) | instid1(VALU_DEP_1)
	v_xor_b32_e32 v14, v12, v9
	v_alignbit_b32 v15, v14, v14, 16
	s_wait_loadcnt 0x0
	s_delay_alu instid0(VALU_DEP_1) | instskip(NEXT) | instid1(VALU_DEP_1)
	v_dual_add_nc_u32 v18, v15, v6 :: v_dual_bitop2_b32 v10, v13, v8 bitop3:0x14
	v_alignbit_b32 v10, v10, v10, 16
	s_delay_alu instid0(VALU_DEP_2) | instskip(NEXT) | instid1(VALU_DEP_2)
	v_xor_b32_e32 v16, v18, v2
	v_add_nc_u32_e32 v17, v10, v7
	s_delay_alu instid0(VALU_DEP_2) | instskip(NEXT) | instid1(VALU_DEP_2)
	v_alignbit_b32 v20, v16, v16, 20
	v_xor_b32_e32 v14, v17, v3
	s_delay_alu instid0(VALU_DEP_1) | instskip(NEXT) | instid1(VALU_DEP_1)
	v_alignbit_b32 v19, v14, v14, 20
	v_dual_add_nc_u32 v14, v19, v8 :: v_dual_add_nc_u32 v8, v20, v9
	s_delay_alu instid0(VALU_DEP_1) | instskip(NEXT) | instid1(VALU_DEP_2)
	v_xor_b32_e32 v9, v14, v10
	v_xor_b32_e32 v10, v8, v15
	s_delay_alu instid0(VALU_DEP_2) | instskip(NEXT) | instid1(VALU_DEP_1)
	v_alignbit_b32 v15, v9, v9, 24
	v_add_nc_u32_e32 v17, v15, v17
	s_delay_alu instid0(VALU_DEP_1) | instskip(NEXT) | instid1(VALU_DEP_1)
	v_xor_b32_e32 v9, v17, v19
	v_alignbit_b32 v19, v9, v9, 25
	s_delay_alu instid0(VALU_DEP_1) | instskip(SKIP_1) | instid1(VALU_DEP_1)
	v_add_nc_u32_e32 v23, v19, v8
	v_alignbit_b32 v16, v10, v10, 24
	v_add_nc_u32_e32 v18, v16, v18
	s_delay_alu instid0(VALU_DEP_1) | instskip(SKIP_1) | instid1(VALU_DEP_2)
	v_xor_b32_e32 v10, v18, v20
	v_add_nc_u32_e32 v20, 0x3320646e, v1
	v_alignbit_b32 v22, v10, v10, 25
	s_branch .LBB0_28
.LBB0_27:                               ;   in Loop: Header=BB0_28 Depth=1
	s_wait_kmcnt 0x0
	global_load_u8 v9, v11, s[0:1]
	s_add_nc_u64 s[2:3], s[2:3], -1
	s_delay_alu instid0(SALU_CYCLE_1)
	s_cmp_lg_u64 s[2:3], 0
	s_wait_loadcnt 0x0
	v_xor_b32_e32 v10, v9, v8
	v_mov_b64_e32 v[8:9], s[4:5]
	global_store_b8 v11, v10, s[0:1]
	s_wait_xcnt 0x0
	s_add_nc_u64 s[0:1], s[0:1], 1
	scratch_store_b64 off, v[8:9], off offset:128
	s_cbranch_scc0 .LBB0_32
.LBB0_28:                               ; =>This Inner Loop Header: Depth=1
	v_cmp_gt_u64_e64 s8, s[4:5], 63
                                        ; implicit-def: $vgpr8
	s_and_b32 vcc_lo, exec_lo, s8
	s_mov_b32 s8, -1
	s_cbranch_vccnz .LBB0_30
; %bb.29:                               ;   in Loop: Header=BB0_28 Depth=1
	scratch_load_u8 v8, off, s4 offset:64
	s_wait_xcnt 0x0
	s_add_nc_u64 s[4:5], s[4:5], 1
	s_mov_b32 s8, 0
.LBB0_30:                               ;   in Loop: Header=BB0_28 Depth=1
	s_delay_alu instid0(SALU_CYCLE_1)
	s_and_not1_b32 vcc_lo, exec_lo, s8
	s_cbranch_vccnz .LBB0_27
; %bb.31:                               ;   in Loop: Header=BB0_28 Depth=1
	s_wait_loadcnt 0x0
	s_wait_xcnt 0x0
	v_xor_b32_e32 v8, s7, v20
	v_xor_b32_e32 v9, v24, v21
	v_add_co_u32 v38, s8, v24, 1
	s_add_co_i32 s9, s7, 1
	v_alignbit_b32 v8, v8, v8, 16
	v_alignbit_b32 v9, v9, v9, 16
	s_and_b32 s8, s8, exec_lo
	s_cselect_b32 s8, s9, s7
	s_mov_b64 s[4:5], 1
	s_delay_alu instid0(VALU_DEP_1) | instskip(SKIP_1) | instid1(VALU_DEP_1)
	v_dual_add_nc_u32 v10, v8, v5 :: v_dual_add_nc_u32 v25, v9, v4
	s_cselect_b32 s6, s9, s6
	v_xor_b32_e32 v26, v10, v1
	s_delay_alu instid0(VALU_DEP_1) | instskip(NEXT) | instid1(VALU_DEP_1)
	v_alignbit_b32 v26, v26, v26, 20
	v_add_nc_u32_e32 v28, v26, v20
	s_delay_alu instid0(VALU_DEP_1) | instskip(NEXT) | instid1(VALU_DEP_1)
	v_dual_add_nc_u32 v28, v28, v22 :: v_dual_bitop2_b32 v8, v28, v8 bitop3:0x14
	v_alignbit_b32 v8, v8, v8, 24
	s_delay_alu instid0(VALU_DEP_1) | instskip(NEXT) | instid1(VALU_DEP_1)
	v_dual_add_nc_u32 v10, v8, v10 :: v_dual_bitop2_b32 v27, v25, v0 bitop3:0x14
	v_alignbit_b32 v27, v27, v27, 20
	s_delay_alu instid0(VALU_DEP_1) | instskip(NEXT) | instid1(VALU_DEP_1)
	v_add_nc_u32_e32 v29, v27, v21
	v_xor_b32_e32 v9, v29, v9
	s_delay_alu instid0(VALU_DEP_1) | instskip(NEXT) | instid1(VALU_DEP_1)
	v_alignbit_b32 v9, v9, v9, 24
	v_dual_add_nc_u32 v25, v9, v25 :: v_dual_bitop2_b32 v9, v9, v28 bitop3:0x14
	s_delay_alu instid0(VALU_DEP_1) | instskip(NEXT) | instid1(VALU_DEP_2)
	v_xor_b32_e32 v27, v25, v27
	v_alignbit_b32 v9, v9, v9, 16
	s_delay_alu instid0(VALU_DEP_1) | instskip(NEXT) | instid1(VALU_DEP_1)
	v_dual_add_nc_u32 v30, v9, v17 :: v_dual_bitop2_b32 v8, v8, v23 bitop3:0x14
	v_alignbit_b32 v8, v8, v8, 16
	s_delay_alu instid0(VALU_DEP_1) | instskip(NEXT) | instid1(VALU_DEP_1)
	v_add_nc_u32_e32 v25, v8, v25
	v_xor_b32_e32 v32, v25, v19
	s_delay_alu instid0(VALU_DEP_1) | instskip(NEXT) | instid1(VALU_DEP_1)
	v_alignbit_b32 v32, v32, v32, 20
	v_dual_add_nc_u32 v36, v32, v23 :: v_dual_bitop2_b32 v26, v10, v26 bitop3:0x14
	s_delay_alu instid0(VALU_DEP_1) | instskip(NEXT) | instid1(VALU_DEP_1)
	v_alignbit_b32 v26, v26, v26, 25
	v_dual_add_nc_u32 v29, v26, v29 :: v_dual_bitop2_b32 v8, v36, v8 bitop3:0x14
	v_alignbit_b32 v27, v27, v27, 25
	s_delay_alu instid0(VALU_DEP_2) | instskip(SKIP_1) | instid1(VALU_DEP_2)
	v_alignbit_b32 v8, v8, v8, 24
	v_xor_b32_e32 v33, v30, v22
	v_dual_add_nc_u32 v31, v27, v14 :: v_dual_add_nc_u32 v25, v8, v25
	s_delay_alu instid0(VALU_DEP_2) | instskip(NEXT) | instid1(VALU_DEP_1)
	v_alignbit_b32 v33, v33, v33, 20
	v_add_nc_u32_e32 v28, v33, v28
	s_delay_alu instid0(VALU_DEP_1) | instskip(NEXT) | instid1(VALU_DEP_1)
	v_xor_b32_e32 v9, v28, v9
	v_alignbit_b32 v9, v9, v9, 24
	s_delay_alu instid0(VALU_DEP_1) | instskip(NEXT) | instid1(VALU_DEP_1)
	v_dual_add_nc_u32 v30, v9, v30 :: v_dual_bitop2_b32 v35, v31, v16 bitop3:0x14
	v_alignbit_b32 v35, v35, v35, 16
	s_delay_alu instid0(VALU_DEP_1) | instskip(NEXT) | instid1(VALU_DEP_1)
	v_dual_add_nc_u32 v10, v35, v10 :: v_dual_bitop2_b32 v34, v29, v15 bitop3:0x14
	v_alignbit_b32 v34, v34, v34, 16
	s_delay_alu instid0(VALU_DEP_2) | instskip(NEXT) | instid1(VALU_DEP_2)
	v_xor_b32_e32 v27, v10, v27
	v_dual_add_nc_u32 v37, v34, v18 :: v_dual_bitop2_b32 v32, v25, v32 bitop3:0x14
	s_delay_alu instid0(VALU_DEP_2) | instskip(NEXT) | instid1(VALU_DEP_2)
	v_alignbit_b32 v27, v27, v27, 20
	v_alignbit_b32 v32, v32, v32, 25
	s_delay_alu instid0(VALU_DEP_2) | instskip(NEXT) | instid1(VALU_DEP_1)
	v_dual_add_nc_u32 v31, v27, v31 :: v_dual_bitop2_b32 v26, v37, v26 bitop3:0x14
	v_xor_b32_e32 v35, v31, v35
	s_delay_alu instid0(VALU_DEP_3) | instskip(NEXT) | instid1(VALU_DEP_3)
	v_add_nc_u32_e32 v31, v32, v31
	v_alignbit_b32 v26, v26, v26, 20
	s_delay_alu instid0(VALU_DEP_3) | instskip(SKIP_1) | instid1(VALU_DEP_2)
	v_alignbit_b32 v35, v35, v35, 24
	v_xor_b32_e32 v33, v30, v33
	v_dual_add_nc_u32 v29, v26, v29 :: v_dual_add_nc_u32 v10, v35, v10
	s_delay_alu instid0(VALU_DEP_2) | instskip(NEXT) | instid1(VALU_DEP_1)
	v_alignbit_b32 v33, v33, v33, 25
	v_dual_add_nc_u32 v36, v33, v36 :: v_dual_bitop2_b32 v27, v10, v27 bitop3:0x14
	s_delay_alu instid0(VALU_DEP_1) | instskip(NEXT) | instid1(VALU_DEP_2)
	v_xor_b32_e32 v35, v36, v35
	v_alignbit_b32 v27, v27, v27, 25
	s_delay_alu instid0(VALU_DEP_2) | instskip(NEXT) | instid1(VALU_DEP_2)
	v_alignbit_b32 v35, v35, v35, 16
	v_dual_add_nc_u32 v29, v27, v29 :: v_dual_bitop2_b32 v34, v29, v34 bitop3:0x14
	s_delay_alu instid0(VALU_DEP_1) | instskip(NEXT) | instid1(VALU_DEP_1)
	v_alignbit_b32 v34, v34, v34, 24
	v_add_nc_u32_e32 v37, v34, v37
	s_delay_alu instid0(VALU_DEP_1) | instskip(NEXT) | instid1(VALU_DEP_1)
	v_dual_add_nc_u32 v37, v35, v37 :: v_dual_bitop2_b32 v26, v37, v26 bitop3:0x14
	v_alignbit_b32 v26, v26, v26, 25
	s_delay_alu instid0(VALU_DEP_1) | instskip(NEXT) | instid1(VALU_DEP_1)
	v_dual_add_nc_u32 v28, v26, v28 :: v_dual_bitop2_b32 v34, v31, v34 bitop3:0x14
	v_alignbit_b32 v34, v34, v34, 16
	;; [unrolled: 3-line block ×6, first 2 shown]
	s_delay_alu instid0(VALU_DEP_1) | instskip(SKIP_1) | instid1(VALU_DEP_1)
	v_add_nc_u32_e32 v36, v33, v36
	v_xor_b32_e32 v27, v25, v27
	v_alignbit_b32 v27, v27, v27, 20
	s_delay_alu instid0(VALU_DEP_1) | instskip(NEXT) | instid1(VALU_DEP_1)
	v_dual_add_nc_u32 v29, v27, v29 :: v_dual_bitop2_b32 v35, v36, v35 bitop3:0x14
	v_alignbit_b32 v35, v35, v35, 24
	v_xor_b32_e32 v26, v10, v26
	s_delay_alu instid0(VALU_DEP_3) | instskip(NEXT) | instid1(VALU_DEP_3)
	v_xor_b32_e32 v9, v29, v9
	v_add_nc_u32_e32 v37, v35, v37
	s_delay_alu instid0(VALU_DEP_3) | instskip(SKIP_1) | instid1(VALU_DEP_4)
	v_alignbit_b32 v26, v26, v26, 20
	v_xor_b32_e32 v34, v31, v34
	v_alignbit_b32 v9, v9, v9, 24
	s_delay_alu instid0(VALU_DEP_3) | instskip(NEXT) | instid1(VALU_DEP_3)
	v_add_nc_u32_e32 v28, v26, v28
	v_alignbit_b32 v34, v34, v34, 24
	s_delay_alu instid0(VALU_DEP_2) | instskip(NEXT) | instid1(VALU_DEP_1)
	v_dual_add_nc_u32 v25, v9, v25 :: v_dual_bitop2_b32 v8, v28, v8 bitop3:0x14
	v_dual_add_nc_u32 v30, v34, v30 :: v_dual_bitop2_b32 v27, v25, v27 bitop3:0x14
	s_delay_alu instid0(VALU_DEP_2) | instskip(NEXT) | instid1(VALU_DEP_2)
	v_alignbit_b32 v8, v8, v8, 24
	v_xor_b32_e32 v32, v30, v32
	s_delay_alu instid0(VALU_DEP_3) | instskip(NEXT) | instid1(VALU_DEP_3)
	v_alignbit_b32 v27, v27, v27, 25
	v_dual_add_nc_u32 v10, v8, v10 :: v_dual_bitop2_b32 v33, v37, v33 bitop3:0x14
	s_delay_alu instid0(VALU_DEP_3) | instskip(NEXT) | instid1(VALU_DEP_3)
	v_alignbit_b32 v32, v32, v32, 25
	v_add_nc_u32_e32 v31, v27, v31
	s_delay_alu instid0(VALU_DEP_3) | instskip(NEXT) | instid1(VALU_DEP_3)
	v_alignbit_b32 v33, v33, v33, 25
	v_dual_add_nc_u32 v36, v32, v36 :: v_dual_bitop2_b32 v26, v10, v26 bitop3:0x14
	s_delay_alu instid0(VALU_DEP_2) | instskip(NEXT) | instid1(VALU_DEP_2)
	v_add_nc_u32_e32 v28, v33, v28
	v_alignbit_b32 v26, v26, v26, 25
	s_delay_alu instid0(VALU_DEP_2) | instskip(NEXT) | instid1(VALU_DEP_1)
	v_xor_b32_e32 v9, v28, v9
	v_alignbit_b32 v9, v9, v9, 16
	s_delay_alu instid0(VALU_DEP_1) | instskip(NEXT) | instid1(VALU_DEP_1)
	v_dual_add_nc_u32 v30, v9, v30 :: v_dual_bitop2_b32 v8, v36, v8 bitop3:0x14
	v_alignbit_b32 v8, v8, v8, 16
	s_delay_alu instid0(VALU_DEP_1) | instskip(NEXT) | instid1(VALU_DEP_1)
	v_add_nc_u32_e32 v25, v8, v25
	v_dual_add_nc_u32 v29, v26, v29 :: v_dual_bitop2_b32 v32, v25, v32 bitop3:0x14
	s_delay_alu instid0(VALU_DEP_1) | instskip(NEXT) | instid1(VALU_DEP_1)
	v_alignbit_b32 v32, v32, v32, 20
	v_add_nc_u32_e32 v36, v32, v36
	s_delay_alu instid0(VALU_DEP_1) | instskip(NEXT) | instid1(VALU_DEP_1)
	v_xor_b32_e32 v8, v36, v8
	v_alignbit_b32 v8, v8, v8, 24
	s_delay_alu instid0(VALU_DEP_1) | instskip(NEXT) | instid1(VALU_DEP_1)
	v_dual_add_nc_u32 v25, v8, v25 :: v_dual_bitop2_b32 v34, v29, v34 bitop3:0x14
	v_alignbit_b32 v34, v34, v34, 16
	s_delay_alu instid0(VALU_DEP_1) | instskip(NEXT) | instid1(VALU_DEP_1)
	v_dual_add_nc_u32 v37, v34, v37 :: v_dual_bitop2_b32 v35, v31, v35 bitop3:0x14
	v_alignbit_b32 v35, v35, v35, 16
	v_xor_b32_e32 v33, v30, v33
	s_delay_alu instid0(VALU_DEP_2) | instskip(NEXT) | instid1(VALU_DEP_2)
	v_dual_add_nc_u32 v10, v35, v10 :: v_dual_bitop2_b32 v32, v25, v32 bitop3:0x14
	v_alignbit_b32 v33, v33, v33, 20
	s_delay_alu instid0(VALU_DEP_2) | instskip(NEXT) | instid1(VALU_DEP_2)
	v_alignbit_b32 v32, v32, v32, 25
	v_dual_add_nc_u32 v28, v33, v28 :: v_dual_bitop2_b32 v27, v10, v27 bitop3:0x14
	s_delay_alu instid0(VALU_DEP_1) | instskip(NEXT) | instid1(VALU_DEP_1)
	v_alignbit_b32 v27, v27, v27, 20
	v_dual_add_nc_u32 v31, v27, v31 :: v_dual_bitop2_b32 v9, v28, v9 bitop3:0x14
	v_xor_b32_e32 v26, v37, v26
	s_delay_alu instid0(VALU_DEP_2) | instskip(NEXT) | instid1(VALU_DEP_1)
	v_alignbit_b32 v9, v9, v9, 24
	v_dual_add_nc_u32 v30, v9, v30 :: v_dual_bitop2_b32 v35, v31, v35 bitop3:0x14
	v_add_nc_u32_e32 v31, v32, v31
	s_delay_alu instid0(VALU_DEP_4) | instskip(NEXT) | instid1(VALU_DEP_3)
	v_alignbit_b32 v26, v26, v26, 20
	v_xor_b32_e32 v33, v30, v33
	s_delay_alu instid0(VALU_DEP_4) | instskip(NEXT) | instid1(VALU_DEP_1)
	v_alignbit_b32 v35, v35, v35, 24
	v_dual_add_nc_u32 v29, v26, v29 :: v_dual_add_nc_u32 v10, v35, v10
	s_delay_alu instid0(VALU_DEP_1) | instskip(NEXT) | instid1(VALU_DEP_1)
	v_xor_b32_e32 v34, v29, v34
	v_alignbit_b32 v34, v34, v34, 24
	s_delay_alu instid0(VALU_DEP_1) | instskip(NEXT) | instid1(VALU_DEP_1)
	v_add_nc_u32_e32 v37, v34, v37
	v_xor_b32_e32 v26, v37, v26
	s_delay_alu instid0(VALU_DEP_1) | instskip(NEXT) | instid1(VALU_DEP_1)
	v_alignbit_b32 v26, v26, v26, 25
	v_dual_add_nc_u32 v28, v26, v28 :: v_dual_bitop2_b32 v34, v31, v34 bitop3:0x14
	s_delay_alu instid0(VALU_DEP_1) | instskip(NEXT) | instid1(VALU_DEP_1)
	v_alignbit_b32 v34, v34, v34, 16
	v_dual_add_nc_u32 v30, v34, v30 :: v_dual_bitop2_b32 v8, v28, v8 bitop3:0x14
	s_delay_alu instid0(VALU_DEP_1) | instskip(NEXT) | instid1(VALU_DEP_2)
	v_alignbit_b32 v8, v8, v8, 16
	v_xor_b32_e32 v32, v30, v32
	s_delay_alu instid0(VALU_DEP_1) | instskip(NEXT) | instid1(VALU_DEP_1)
	v_alignbit_b32 v32, v32, v32, 20
	v_add_nc_u32_e32 v31, v32, v31
	v_alignbit_b32 v33, v33, v33, 25
	s_delay_alu instid0(VALU_DEP_1) | instskip(SKIP_1) | instid1(VALU_DEP_2)
	v_dual_add_nc_u32 v36, v33, v36 :: v_dual_bitop2_b32 v34, v31, v34 bitop3:0x14
	v_dual_add_nc_u32 v10, v8, v10 :: v_dual_bitop2_b32 v27, v10, v27 bitop3:0x14
	v_alignbit_b32 v34, v34, v34, 24
	s_delay_alu instid0(VALU_DEP_2) | instskip(NEXT) | instid1(VALU_DEP_4)
	v_alignbit_b32 v27, v27, v27, 25
	v_xor_b32_e32 v35, v36, v35
	s_delay_alu instid0(VALU_DEP_4) | instskip(NEXT) | instid1(VALU_DEP_3)
	v_xor_b32_e32 v26, v10, v26
	v_dual_add_nc_u32 v30, v34, v30 :: v_dual_add_nc_u32 v29, v27, v29
	s_delay_alu instid0(VALU_DEP_3) | instskip(NEXT) | instid1(VALU_DEP_3)
	v_alignbit_b32 v35, v35, v35, 16
	v_alignbit_b32 v26, v26, v26, 20
	s_delay_alu instid0(VALU_DEP_3) | instskip(NEXT) | instid1(VALU_DEP_2)
	v_xor_b32_e32 v9, v29, v9
	v_dual_add_nc_u32 v37, v35, v37 :: v_dual_add_nc_u32 v28, v26, v28
	s_delay_alu instid0(VALU_DEP_2) | instskip(NEXT) | instid1(VALU_DEP_2)
	v_alignbit_b32 v9, v9, v9, 16
	v_xor_b32_e32 v33, v37, v33
	s_delay_alu instid0(VALU_DEP_2) | instskip(NEXT) | instid1(VALU_DEP_2)
	v_dual_add_nc_u32 v25, v9, v25 :: v_dual_bitop2_b32 v8, v28, v8 bitop3:0x14
	v_alignbit_b32 v33, v33, v33, 20
	s_delay_alu instid0(VALU_DEP_2) | instskip(NEXT) | instid1(VALU_DEP_3)
	v_alignbit_b32 v8, v8, v8, 24
	v_xor_b32_e32 v27, v25, v27
	s_delay_alu instid0(VALU_DEP_2) | instskip(NEXT) | instid1(VALU_DEP_2)
	v_dual_add_nc_u32 v36, v33, v36 :: v_dual_add_nc_u32 v10, v8, v10
	v_alignbit_b32 v27, v27, v27, 20
	s_delay_alu instid0(VALU_DEP_1) | instskip(NEXT) | instid1(VALU_DEP_1)
	v_dual_add_nc_u32 v29, v27, v29 :: v_dual_bitop2_b32 v35, v36, v35 bitop3:0x14
	v_alignbit_b32 v35, v35, v35, 24
	s_delay_alu instid0(VALU_DEP_2) | instskip(NEXT) | instid1(VALU_DEP_2)
	v_xor_b32_e32 v9, v29, v9
	v_add_nc_u32_e32 v37, v35, v37
	s_delay_alu instid0(VALU_DEP_2) | instskip(NEXT) | instid1(VALU_DEP_1)
	v_alignbit_b32 v9, v9, v9, 24
	v_dual_add_nc_u32 v25, v9, v25 :: v_dual_bitop2_b32 v32, v30, v32 bitop3:0x14
	s_delay_alu instid0(VALU_DEP_1) | instskip(NEXT) | instid1(VALU_DEP_1)
	v_alignbit_b32 v32, v32, v32, 25
	v_dual_add_nc_u32 v36, v32, v36 :: v_dual_bitop2_b32 v26, v10, v26 bitop3:0x14
	s_delay_alu instid0(VALU_DEP_1) | instskip(NEXT) | instid1(VALU_DEP_1)
	v_alignbit_b32 v26, v26, v26, 25
	v_dual_add_nc_u32 v29, v26, v29 :: v_dual_bitop2_b32 v8, v36, v8 bitop3:0x14
	s_delay_alu instid0(VALU_DEP_1) | instskip(NEXT) | instid1(VALU_DEP_2)
	v_alignbit_b32 v8, v8, v8, 16
	v_xor_b32_e32 v34, v29, v34
	s_delay_alu instid0(VALU_DEP_1) | instskip(NEXT) | instid1(VALU_DEP_3)
	v_alignbit_b32 v34, v34, v34, 16
	v_dual_add_nc_u32 v25, v8, v25 :: v_dual_bitop2_b32 v27, v25, v27 bitop3:0x14
	s_delay_alu instid0(VALU_DEP_1) | instskip(SKIP_1) | instid1(VALU_DEP_2)
	v_alignbit_b32 v27, v27, v27, 25
	v_xor_b32_e32 v33, v37, v33
	v_dual_add_nc_u32 v37, v34, v37 :: v_dual_add_nc_u32 v31, v27, v31
	s_delay_alu instid0(VALU_DEP_2) | instskip(NEXT) | instid1(VALU_DEP_2)
	v_alignbit_b32 v33, v33, v33, 25
	v_xor_b32_e32 v26, v37, v26
	s_delay_alu instid0(VALU_DEP_2) | instskip(NEXT) | instid1(VALU_DEP_2)
	v_add_nc_u32_e32 v28, v33, v28
	v_alignbit_b32 v26, v26, v26, 20
	v_xor_b32_e32 v35, v31, v35
	s_delay_alu instid0(VALU_DEP_3) | instskip(NEXT) | instid1(VALU_DEP_3)
	v_xor_b32_e32 v9, v28, v9
	v_add_nc_u32_e32 v29, v26, v29
	s_delay_alu instid0(VALU_DEP_3) | instskip(SKIP_1) | instid1(VALU_DEP_4)
	v_alignbit_b32 v35, v35, v35, 16
	v_xor_b32_e32 v32, v25, v32
	v_alignbit_b32 v9, v9, v9, 16
	s_delay_alu instid0(VALU_DEP_4) | instskip(NEXT) | instid1(VALU_DEP_4)
	v_xor_b32_e32 v34, v29, v34
	v_add_nc_u32_e32 v10, v35, v10
	s_delay_alu instid0(VALU_DEP_4) | instskip(NEXT) | instid1(VALU_DEP_4)
	v_alignbit_b32 v32, v32, v32, 20
	v_add_nc_u32_e32 v30, v9, v30
	s_delay_alu instid0(VALU_DEP_4) | instskip(NEXT) | instid1(VALU_DEP_3)
	v_alignbit_b32 v34, v34, v34, 24
	v_dual_add_nc_u32 v36, v32, v36 :: v_dual_bitop2_b32 v27, v10, v27 bitop3:0x14
	s_delay_alu instid0(VALU_DEP_3) | instskip(NEXT) | instid1(VALU_DEP_3)
	v_xor_b32_e32 v33, v30, v33
	v_add_nc_u32_e32 v37, v34, v37
	s_delay_alu instid0(VALU_DEP_3) | instskip(NEXT) | instid1(VALU_DEP_4)
	v_alignbit_b32 v27, v27, v27, 20
	v_xor_b32_e32 v8, v36, v8
	s_delay_alu instid0(VALU_DEP_4) | instskip(NEXT) | instid1(VALU_DEP_3)
	v_alignbit_b32 v33, v33, v33, 20
	v_dual_add_nc_u32 v31, v27, v31 :: v_dual_bitop2_b32 v26, v37, v26 bitop3:0x14
	s_delay_alu instid0(VALU_DEP_3) | instskip(NEXT) | instid1(VALU_DEP_3)
	v_alignbit_b32 v8, v8, v8, 24
	v_add_nc_u32_e32 v28, v33, v28
	s_delay_alu instid0(VALU_DEP_3) | instskip(NEXT) | instid1(VALU_DEP_3)
	v_alignbit_b32 v26, v26, v26, 25
	v_add_nc_u32_e32 v25, v8, v25
	s_delay_alu instid0(VALU_DEP_2) | instskip(NEXT) | instid1(VALU_DEP_2)
	v_dual_add_nc_u32 v28, v26, v28 :: v_dual_bitop2_b32 v9, v28, v9 bitop3:0x14
	v_xor_b32_e32 v32, v25, v32
	s_delay_alu instid0(VALU_DEP_2) | instskip(NEXT) | instid1(VALU_DEP_3)
	v_alignbit_b32 v9, v9, v9, 24
	v_xor_b32_e32 v8, v28, v8
	s_delay_alu instid0(VALU_DEP_3) | instskip(NEXT) | instid1(VALU_DEP_3)
	v_alignbit_b32 v32, v32, v32, 25
	v_dual_add_nc_u32 v30, v9, v30 :: v_dual_bitop2_b32 v35, v31, v35 bitop3:0x14
	s_delay_alu instid0(VALU_DEP_3) | instskip(NEXT) | instid1(VALU_DEP_2)
	v_alignbit_b32 v8, v8, v8, 16
	v_dual_add_nc_u32 v31, v32, v31 :: v_dual_bitop2_b32 v33, v30, v33 bitop3:0x14
	s_delay_alu instid0(VALU_DEP_1) | instskip(NEXT) | instid1(VALU_DEP_1)
	v_xor_b32_e32 v34, v31, v34
	v_alignbit_b32 v34, v34, v34, 16
	s_delay_alu instid0(VALU_DEP_1) | instskip(SKIP_1) | instid1(VALU_DEP_1)
	v_add_nc_u32_e32 v30, v34, v30
	v_alignbit_b32 v35, v35, v35, 24
	v_dual_add_nc_u32 v10, v35, v10 :: v_dual_bitop2_b32 v32, v30, v32 bitop3:0x14
	s_delay_alu instid0(VALU_DEP_1) | instskip(NEXT) | instid1(VALU_DEP_1)
	v_alignbit_b32 v32, v32, v32, 20
	v_add_nc_u32_e32 v31, v32, v31
	v_alignbit_b32 v33, v33, v33, 25
	s_delay_alu instid0(VALU_DEP_1) | instskip(SKIP_1) | instid1(VALU_DEP_2)
	v_dual_add_nc_u32 v36, v33, v36 :: v_dual_bitop2_b32 v34, v31, v34 bitop3:0x14
	v_dual_add_nc_u32 v10, v8, v10 :: v_dual_bitop2_b32 v27, v10, v27 bitop3:0x14
	v_alignbit_b32 v34, v34, v34, 24
	s_delay_alu instid0(VALU_DEP_2) | instskip(NEXT) | instid1(VALU_DEP_4)
	v_alignbit_b32 v27, v27, v27, 25
	v_xor_b32_e32 v35, v36, v35
	s_delay_alu instid0(VALU_DEP_4) | instskip(NEXT) | instid1(VALU_DEP_3)
	v_xor_b32_e32 v26, v10, v26
	v_dual_add_nc_u32 v30, v34, v30 :: v_dual_add_nc_u32 v29, v27, v29
	s_delay_alu instid0(VALU_DEP_3) | instskip(NEXT) | instid1(VALU_DEP_3)
	v_alignbit_b32 v35, v35, v35, 16
	v_alignbit_b32 v26, v26, v26, 20
	s_delay_alu instid0(VALU_DEP_3) | instskip(NEXT) | instid1(VALU_DEP_2)
	v_xor_b32_e32 v9, v29, v9
	v_dual_add_nc_u32 v37, v35, v37 :: v_dual_add_nc_u32 v28, v26, v28
	s_delay_alu instid0(VALU_DEP_2) | instskip(NEXT) | instid1(VALU_DEP_2)
	v_alignbit_b32 v9, v9, v9, 16
	v_xor_b32_e32 v33, v37, v33
	s_delay_alu instid0(VALU_DEP_2) | instskip(NEXT) | instid1(VALU_DEP_2)
	v_dual_add_nc_u32 v25, v9, v25 :: v_dual_bitop2_b32 v8, v28, v8 bitop3:0x14
	v_alignbit_b32 v33, v33, v33, 20
	s_delay_alu instid0(VALU_DEP_2) | instskip(NEXT) | instid1(VALU_DEP_3)
	v_alignbit_b32 v8, v8, v8, 24
	v_xor_b32_e32 v27, v25, v27
	s_delay_alu instid0(VALU_DEP_2) | instskip(NEXT) | instid1(VALU_DEP_2)
	v_dual_add_nc_u32 v36, v33, v36 :: v_dual_add_nc_u32 v10, v8, v10
	v_alignbit_b32 v27, v27, v27, 20
	s_delay_alu instid0(VALU_DEP_1) | instskip(NEXT) | instid1(VALU_DEP_1)
	v_dual_add_nc_u32 v29, v27, v29 :: v_dual_bitop2_b32 v35, v36, v35 bitop3:0x14
	v_alignbit_b32 v35, v35, v35, 24
	s_delay_alu instid0(VALU_DEP_2) | instskip(NEXT) | instid1(VALU_DEP_2)
	v_xor_b32_e32 v9, v29, v9
	v_add_nc_u32_e32 v37, v35, v37
	s_delay_alu instid0(VALU_DEP_2) | instskip(NEXT) | instid1(VALU_DEP_1)
	v_alignbit_b32 v9, v9, v9, 24
	v_dual_add_nc_u32 v25, v9, v25 :: v_dual_bitop2_b32 v32, v30, v32 bitop3:0x14
	s_delay_alu instid0(VALU_DEP_1) | instskip(NEXT) | instid1(VALU_DEP_1)
	v_alignbit_b32 v32, v32, v32, 25
	v_dual_add_nc_u32 v36, v32, v36 :: v_dual_bitop2_b32 v26, v10, v26 bitop3:0x14
	s_delay_alu instid0(VALU_DEP_1) | instskip(NEXT) | instid1(VALU_DEP_1)
	v_alignbit_b32 v26, v26, v26, 25
	v_dual_add_nc_u32 v29, v26, v29 :: v_dual_bitop2_b32 v8, v36, v8 bitop3:0x14
	s_delay_alu instid0(VALU_DEP_1) | instskip(NEXT) | instid1(VALU_DEP_2)
	v_alignbit_b32 v8, v8, v8, 16
	v_xor_b32_e32 v34, v29, v34
	s_delay_alu instid0(VALU_DEP_1) | instskip(NEXT) | instid1(VALU_DEP_3)
	v_alignbit_b32 v34, v34, v34, 16
	v_dual_add_nc_u32 v25, v8, v25 :: v_dual_bitop2_b32 v27, v25, v27 bitop3:0x14
	s_delay_alu instid0(VALU_DEP_1) | instskip(SKIP_1) | instid1(VALU_DEP_2)
	v_alignbit_b32 v27, v27, v27, 25
	v_xor_b32_e32 v33, v37, v33
	v_dual_add_nc_u32 v37, v34, v37 :: v_dual_add_nc_u32 v31, v27, v31
	s_delay_alu instid0(VALU_DEP_2) | instskip(NEXT) | instid1(VALU_DEP_2)
	v_alignbit_b32 v33, v33, v33, 25
	v_xor_b32_e32 v26, v37, v26
	s_delay_alu instid0(VALU_DEP_2) | instskip(NEXT) | instid1(VALU_DEP_2)
	v_add_nc_u32_e32 v28, v33, v28
	v_alignbit_b32 v26, v26, v26, 20
	v_xor_b32_e32 v35, v31, v35
	s_delay_alu instid0(VALU_DEP_3) | instskip(NEXT) | instid1(VALU_DEP_3)
	v_xor_b32_e32 v9, v28, v9
	v_add_nc_u32_e32 v29, v26, v29
	s_delay_alu instid0(VALU_DEP_3) | instskip(SKIP_1) | instid1(VALU_DEP_4)
	v_alignbit_b32 v35, v35, v35, 16
	v_xor_b32_e32 v32, v25, v32
	v_alignbit_b32 v9, v9, v9, 16
	s_delay_alu instid0(VALU_DEP_4) | instskip(NEXT) | instid1(VALU_DEP_4)
	v_xor_b32_e32 v34, v29, v34
	v_add_nc_u32_e32 v10, v35, v10
	s_delay_alu instid0(VALU_DEP_4) | instskip(NEXT) | instid1(VALU_DEP_4)
	v_alignbit_b32 v32, v32, v32, 20
	v_add_nc_u32_e32 v30, v9, v30
	s_delay_alu instid0(VALU_DEP_4) | instskip(NEXT) | instid1(VALU_DEP_3)
	v_alignbit_b32 v34, v34, v34, 24
	v_dual_add_nc_u32 v36, v32, v36 :: v_dual_bitop2_b32 v27, v10, v27 bitop3:0x14
	s_delay_alu instid0(VALU_DEP_3) | instskip(NEXT) | instid1(VALU_DEP_3)
	v_xor_b32_e32 v33, v30, v33
	v_add_nc_u32_e32 v37, v34, v37
	s_delay_alu instid0(VALU_DEP_3) | instskip(NEXT) | instid1(VALU_DEP_4)
	v_alignbit_b32 v27, v27, v27, 20
	v_xor_b32_e32 v8, v36, v8
	s_delay_alu instid0(VALU_DEP_4) | instskip(NEXT) | instid1(VALU_DEP_3)
	v_alignbit_b32 v33, v33, v33, 20
	v_dual_add_nc_u32 v31, v27, v31 :: v_dual_bitop2_b32 v26, v37, v26 bitop3:0x14
	s_delay_alu instid0(VALU_DEP_3) | instskip(NEXT) | instid1(VALU_DEP_3)
	v_alignbit_b32 v8, v8, v8, 24
	v_add_nc_u32_e32 v28, v33, v28
	s_delay_alu instid0(VALU_DEP_3) | instskip(NEXT) | instid1(VALU_DEP_3)
	v_alignbit_b32 v26, v26, v26, 25
	v_add_nc_u32_e32 v25, v8, v25
	s_delay_alu instid0(VALU_DEP_2) | instskip(NEXT) | instid1(VALU_DEP_2)
	v_dual_add_nc_u32 v28, v26, v28 :: v_dual_bitop2_b32 v9, v28, v9 bitop3:0x14
	v_xor_b32_e32 v32, v25, v32
	s_delay_alu instid0(VALU_DEP_2) | instskip(NEXT) | instid1(VALU_DEP_3)
	v_alignbit_b32 v9, v9, v9, 24
	v_xor_b32_e32 v8, v28, v8
	s_delay_alu instid0(VALU_DEP_3) | instskip(NEXT) | instid1(VALU_DEP_3)
	v_alignbit_b32 v32, v32, v32, 25
	v_dual_add_nc_u32 v30, v9, v30 :: v_dual_bitop2_b32 v35, v31, v35 bitop3:0x14
	s_delay_alu instid0(VALU_DEP_3) | instskip(NEXT) | instid1(VALU_DEP_2)
	v_alignbit_b32 v8, v8, v8, 16
	v_dual_add_nc_u32 v31, v32, v31 :: v_dual_bitop2_b32 v33, v30, v33 bitop3:0x14
	s_delay_alu instid0(VALU_DEP_1) | instskip(NEXT) | instid1(VALU_DEP_1)
	v_xor_b32_e32 v34, v31, v34
	v_alignbit_b32 v34, v34, v34, 16
	s_delay_alu instid0(VALU_DEP_1) | instskip(SKIP_1) | instid1(VALU_DEP_1)
	v_add_nc_u32_e32 v30, v34, v30
	v_alignbit_b32 v35, v35, v35, 24
	v_dual_add_nc_u32 v10, v35, v10 :: v_dual_bitop2_b32 v32, v30, v32 bitop3:0x14
	s_delay_alu instid0(VALU_DEP_1) | instskip(NEXT) | instid1(VALU_DEP_1)
	v_alignbit_b32 v32, v32, v32, 20
	v_add_nc_u32_e32 v31, v32, v31
	v_alignbit_b32 v33, v33, v33, 25
	s_delay_alu instid0(VALU_DEP_1) | instskip(SKIP_1) | instid1(VALU_DEP_2)
	v_dual_add_nc_u32 v36, v33, v36 :: v_dual_bitop2_b32 v34, v31, v34 bitop3:0x14
	v_dual_add_nc_u32 v10, v8, v10 :: v_dual_bitop2_b32 v27, v10, v27 bitop3:0x14
	v_alignbit_b32 v34, v34, v34, 24
	s_delay_alu instid0(VALU_DEP_2) | instskip(NEXT) | instid1(VALU_DEP_4)
	v_alignbit_b32 v27, v27, v27, 25
	v_xor_b32_e32 v35, v36, v35
	s_delay_alu instid0(VALU_DEP_4) | instskip(NEXT) | instid1(VALU_DEP_3)
	v_xor_b32_e32 v26, v10, v26
	v_dual_add_nc_u32 v30, v34, v30 :: v_dual_add_nc_u32 v29, v27, v29
	s_delay_alu instid0(VALU_DEP_3) | instskip(NEXT) | instid1(VALU_DEP_3)
	v_alignbit_b32 v35, v35, v35, 16
	v_alignbit_b32 v26, v26, v26, 20
	s_delay_alu instid0(VALU_DEP_3) | instskip(NEXT) | instid1(VALU_DEP_2)
	v_xor_b32_e32 v9, v29, v9
	v_dual_add_nc_u32 v37, v35, v37 :: v_dual_add_nc_u32 v28, v26, v28
	s_delay_alu instid0(VALU_DEP_2) | instskip(NEXT) | instid1(VALU_DEP_2)
	v_alignbit_b32 v9, v9, v9, 16
	v_xor_b32_e32 v33, v37, v33
	s_delay_alu instid0(VALU_DEP_2) | instskip(NEXT) | instid1(VALU_DEP_2)
	v_dual_add_nc_u32 v25, v9, v25 :: v_dual_bitop2_b32 v8, v28, v8 bitop3:0x14
	v_alignbit_b32 v33, v33, v33, 20
	s_delay_alu instid0(VALU_DEP_2) | instskip(NEXT) | instid1(VALU_DEP_3)
	v_alignbit_b32 v8, v8, v8, 24
	v_xor_b32_e32 v27, v25, v27
	s_delay_alu instid0(VALU_DEP_2) | instskip(NEXT) | instid1(VALU_DEP_2)
	v_dual_add_nc_u32 v36, v33, v36 :: v_dual_add_nc_u32 v10, v8, v10
	v_alignbit_b32 v27, v27, v27, 20
	s_delay_alu instid0(VALU_DEP_1) | instskip(NEXT) | instid1(VALU_DEP_1)
	v_dual_add_nc_u32 v29, v27, v29 :: v_dual_bitop2_b32 v35, v36, v35 bitop3:0x14
	v_alignbit_b32 v35, v35, v35, 24
	s_delay_alu instid0(VALU_DEP_2) | instskip(NEXT) | instid1(VALU_DEP_2)
	v_xor_b32_e32 v9, v29, v9
	v_add_nc_u32_e32 v37, v35, v37
	s_delay_alu instid0(VALU_DEP_2) | instskip(NEXT) | instid1(VALU_DEP_1)
	v_alignbit_b32 v9, v9, v9, 24
	v_dual_add_nc_u32 v25, v9, v25 :: v_dual_bitop2_b32 v32, v30, v32 bitop3:0x14
	s_delay_alu instid0(VALU_DEP_1) | instskip(NEXT) | instid1(VALU_DEP_1)
	v_alignbit_b32 v32, v32, v32, 25
	v_dual_add_nc_u32 v36, v32, v36 :: v_dual_bitop2_b32 v26, v10, v26 bitop3:0x14
	s_delay_alu instid0(VALU_DEP_1) | instskip(NEXT) | instid1(VALU_DEP_1)
	v_alignbit_b32 v26, v26, v26, 25
	v_dual_add_nc_u32 v29, v26, v29 :: v_dual_bitop2_b32 v8, v36, v8 bitop3:0x14
	s_delay_alu instid0(VALU_DEP_1) | instskip(NEXT) | instid1(VALU_DEP_2)
	v_alignbit_b32 v8, v8, v8, 16
	v_xor_b32_e32 v34, v29, v34
	s_delay_alu instid0(VALU_DEP_1) | instskip(NEXT) | instid1(VALU_DEP_3)
	v_alignbit_b32 v34, v34, v34, 16
	v_dual_add_nc_u32 v25, v8, v25 :: v_dual_bitop2_b32 v27, v25, v27 bitop3:0x14
	s_delay_alu instid0(VALU_DEP_1) | instskip(SKIP_1) | instid1(VALU_DEP_2)
	v_alignbit_b32 v27, v27, v27, 25
	v_xor_b32_e32 v33, v37, v33
	v_dual_add_nc_u32 v37, v34, v37 :: v_dual_add_nc_u32 v31, v27, v31
	s_delay_alu instid0(VALU_DEP_2) | instskip(NEXT) | instid1(VALU_DEP_2)
	v_alignbit_b32 v33, v33, v33, 25
	v_xor_b32_e32 v26, v37, v26
	s_delay_alu instid0(VALU_DEP_2) | instskip(NEXT) | instid1(VALU_DEP_2)
	v_add_nc_u32_e32 v28, v33, v28
	v_alignbit_b32 v26, v26, v26, 20
	v_xor_b32_e32 v35, v31, v35
	s_delay_alu instid0(VALU_DEP_3) | instskip(NEXT) | instid1(VALU_DEP_3)
	v_xor_b32_e32 v9, v28, v9
	v_add_nc_u32_e32 v29, v26, v29
	s_delay_alu instid0(VALU_DEP_3) | instskip(SKIP_1) | instid1(VALU_DEP_4)
	v_alignbit_b32 v35, v35, v35, 16
	v_xor_b32_e32 v32, v25, v32
	v_alignbit_b32 v9, v9, v9, 16
	s_delay_alu instid0(VALU_DEP_4) | instskip(NEXT) | instid1(VALU_DEP_4)
	v_xor_b32_e32 v34, v29, v34
	v_add_nc_u32_e32 v10, v35, v10
	s_delay_alu instid0(VALU_DEP_4) | instskip(NEXT) | instid1(VALU_DEP_4)
	v_alignbit_b32 v32, v32, v32, 20
	v_add_nc_u32_e32 v30, v9, v30
	s_delay_alu instid0(VALU_DEP_4) | instskip(NEXT) | instid1(VALU_DEP_3)
	v_alignbit_b32 v34, v34, v34, 24
	v_dual_add_nc_u32 v36, v32, v36 :: v_dual_bitop2_b32 v27, v10, v27 bitop3:0x14
	s_delay_alu instid0(VALU_DEP_3) | instskip(NEXT) | instid1(VALU_DEP_3)
	v_xor_b32_e32 v33, v30, v33
	v_add_nc_u32_e32 v37, v34, v37
	s_delay_alu instid0(VALU_DEP_3) | instskip(NEXT) | instid1(VALU_DEP_4)
	v_alignbit_b32 v27, v27, v27, 20
	v_xor_b32_e32 v8, v36, v8
	s_delay_alu instid0(VALU_DEP_4) | instskip(NEXT) | instid1(VALU_DEP_3)
	v_alignbit_b32 v33, v33, v33, 20
	v_dual_add_nc_u32 v31, v27, v31 :: v_dual_bitop2_b32 v26, v37, v26 bitop3:0x14
	s_delay_alu instid0(VALU_DEP_3) | instskip(NEXT) | instid1(VALU_DEP_3)
	v_alignbit_b32 v8, v8, v8, 24
	v_add_nc_u32_e32 v28, v33, v28
	s_delay_alu instid0(VALU_DEP_3) | instskip(NEXT) | instid1(VALU_DEP_3)
	v_alignbit_b32 v26, v26, v26, 25
	v_add_nc_u32_e32 v25, v8, v25
	s_delay_alu instid0(VALU_DEP_2) | instskip(NEXT) | instid1(VALU_DEP_2)
	v_dual_add_nc_u32 v28, v26, v28 :: v_dual_bitop2_b32 v9, v28, v9 bitop3:0x14
	v_xor_b32_e32 v32, v25, v32
	s_delay_alu instid0(VALU_DEP_2) | instskip(NEXT) | instid1(VALU_DEP_3)
	v_alignbit_b32 v9, v9, v9, 24
	v_xor_b32_e32 v8, v28, v8
	s_delay_alu instid0(VALU_DEP_3) | instskip(NEXT) | instid1(VALU_DEP_3)
	v_alignbit_b32 v32, v32, v32, 25
	v_dual_add_nc_u32 v30, v9, v30 :: v_dual_bitop2_b32 v35, v31, v35 bitop3:0x14
	s_delay_alu instid0(VALU_DEP_3) | instskip(NEXT) | instid1(VALU_DEP_2)
	v_alignbit_b32 v8, v8, v8, 16
	v_dual_add_nc_u32 v31, v32, v31 :: v_dual_bitop2_b32 v33, v30, v33 bitop3:0x14
	s_delay_alu instid0(VALU_DEP_1) | instskip(NEXT) | instid1(VALU_DEP_1)
	v_xor_b32_e32 v34, v31, v34
	v_alignbit_b32 v34, v34, v34, 16
	s_delay_alu instid0(VALU_DEP_1) | instskip(SKIP_1) | instid1(VALU_DEP_1)
	v_add_nc_u32_e32 v30, v34, v30
	v_alignbit_b32 v35, v35, v35, 24
	v_dual_add_nc_u32 v10, v35, v10 :: v_dual_bitop2_b32 v32, v30, v32 bitop3:0x14
	s_delay_alu instid0(VALU_DEP_1) | instskip(NEXT) | instid1(VALU_DEP_1)
	v_alignbit_b32 v32, v32, v32, 20
	v_add_nc_u32_e32 v31, v32, v31
	v_alignbit_b32 v33, v33, v33, 25
	s_delay_alu instid0(VALU_DEP_1) | instskip(SKIP_1) | instid1(VALU_DEP_2)
	v_dual_add_nc_u32 v36, v33, v36 :: v_dual_bitop2_b32 v34, v31, v34 bitop3:0x14
	v_dual_add_nc_u32 v10, v8, v10 :: v_dual_bitop2_b32 v27, v10, v27 bitop3:0x14
	v_alignbit_b32 v34, v34, v34, 24
	s_delay_alu instid0(VALU_DEP_2) | instskip(NEXT) | instid1(VALU_DEP_4)
	v_alignbit_b32 v27, v27, v27, 25
	v_xor_b32_e32 v35, v36, v35
	s_delay_alu instid0(VALU_DEP_4) | instskip(NEXT) | instid1(VALU_DEP_3)
	v_xor_b32_e32 v26, v10, v26
	v_dual_add_nc_u32 v30, v34, v30 :: v_dual_add_nc_u32 v29, v27, v29
	s_delay_alu instid0(VALU_DEP_3) | instskip(NEXT) | instid1(VALU_DEP_3)
	v_alignbit_b32 v35, v35, v35, 16
	v_alignbit_b32 v26, v26, v26, 20
	s_delay_alu instid0(VALU_DEP_3) | instskip(NEXT) | instid1(VALU_DEP_2)
	v_xor_b32_e32 v9, v29, v9
	v_dual_add_nc_u32 v37, v35, v37 :: v_dual_add_nc_u32 v28, v26, v28
	s_delay_alu instid0(VALU_DEP_2) | instskip(NEXT) | instid1(VALU_DEP_2)
	v_alignbit_b32 v9, v9, v9, 16
	v_xor_b32_e32 v33, v37, v33
	s_delay_alu instid0(VALU_DEP_2) | instskip(NEXT) | instid1(VALU_DEP_2)
	v_dual_add_nc_u32 v25, v9, v25 :: v_dual_bitop2_b32 v8, v28, v8 bitop3:0x14
	v_alignbit_b32 v33, v33, v33, 20
	s_delay_alu instid0(VALU_DEP_2) | instskip(NEXT) | instid1(VALU_DEP_3)
	v_alignbit_b32 v8, v8, v8, 24
	v_xor_b32_e32 v27, v25, v27
	s_delay_alu instid0(VALU_DEP_2) | instskip(NEXT) | instid1(VALU_DEP_2)
	v_dual_add_nc_u32 v36, v33, v36 :: v_dual_add_nc_u32 v10, v8, v10
	v_alignbit_b32 v27, v27, v27, 20
	s_delay_alu instid0(VALU_DEP_1) | instskip(NEXT) | instid1(VALU_DEP_1)
	v_dual_add_nc_u32 v29, v27, v29 :: v_dual_bitop2_b32 v35, v36, v35 bitop3:0x14
	v_alignbit_b32 v35, v35, v35, 24
	s_delay_alu instid0(VALU_DEP_2) | instskip(NEXT) | instid1(VALU_DEP_2)
	v_xor_b32_e32 v9, v29, v9
	v_add_nc_u32_e32 v37, v35, v37
	s_delay_alu instid0(VALU_DEP_2) | instskip(NEXT) | instid1(VALU_DEP_1)
	v_alignbit_b32 v9, v9, v9, 24
	v_dual_add_nc_u32 v25, v9, v25 :: v_dual_bitop2_b32 v32, v30, v32 bitop3:0x14
	s_delay_alu instid0(VALU_DEP_1) | instskip(NEXT) | instid1(VALU_DEP_1)
	v_alignbit_b32 v32, v32, v32, 25
	v_dual_add_nc_u32 v36, v32, v36 :: v_dual_bitop2_b32 v26, v10, v26 bitop3:0x14
	s_delay_alu instid0(VALU_DEP_1) | instskip(NEXT) | instid1(VALU_DEP_1)
	v_alignbit_b32 v26, v26, v26, 25
	v_dual_add_nc_u32 v29, v26, v29 :: v_dual_bitop2_b32 v8, v36, v8 bitop3:0x14
	s_delay_alu instid0(VALU_DEP_1) | instskip(NEXT) | instid1(VALU_DEP_2)
	v_alignbit_b32 v8, v8, v8, 16
	v_xor_b32_e32 v34, v29, v34
	s_delay_alu instid0(VALU_DEP_1) | instskip(NEXT) | instid1(VALU_DEP_3)
	v_alignbit_b32 v34, v34, v34, 16
	v_dual_add_nc_u32 v25, v8, v25 :: v_dual_bitop2_b32 v27, v25, v27 bitop3:0x14
	s_delay_alu instid0(VALU_DEP_1) | instskip(SKIP_1) | instid1(VALU_DEP_2)
	v_alignbit_b32 v27, v27, v27, 25
	v_xor_b32_e32 v33, v37, v33
	v_dual_add_nc_u32 v37, v34, v37 :: v_dual_add_nc_u32 v31, v27, v31
	s_delay_alu instid0(VALU_DEP_2) | instskip(NEXT) | instid1(VALU_DEP_2)
	v_alignbit_b32 v33, v33, v33, 25
	v_xor_b32_e32 v26, v37, v26
	s_delay_alu instid0(VALU_DEP_2) | instskip(NEXT) | instid1(VALU_DEP_2)
	v_add_nc_u32_e32 v28, v33, v28
	v_alignbit_b32 v26, v26, v26, 20
	v_xor_b32_e32 v35, v31, v35
	s_delay_alu instid0(VALU_DEP_3) | instskip(NEXT) | instid1(VALU_DEP_3)
	v_xor_b32_e32 v9, v28, v9
	v_add_nc_u32_e32 v29, v26, v29
	s_delay_alu instid0(VALU_DEP_3) | instskip(SKIP_1) | instid1(VALU_DEP_4)
	v_alignbit_b32 v35, v35, v35, 16
	v_xor_b32_e32 v32, v25, v32
	v_alignbit_b32 v9, v9, v9, 16
	s_delay_alu instid0(VALU_DEP_4) | instskip(NEXT) | instid1(VALU_DEP_4)
	v_xor_b32_e32 v34, v29, v34
	v_add_nc_u32_e32 v10, v35, v10
	s_delay_alu instid0(VALU_DEP_4) | instskip(NEXT) | instid1(VALU_DEP_4)
	v_alignbit_b32 v32, v32, v32, 20
	v_add_nc_u32_e32 v30, v9, v30
	s_delay_alu instid0(VALU_DEP_4) | instskip(NEXT) | instid1(VALU_DEP_3)
	v_alignbit_b32 v34, v34, v34, 24
	v_dual_add_nc_u32 v36, v32, v36 :: v_dual_bitop2_b32 v27, v10, v27 bitop3:0x14
	s_delay_alu instid0(VALU_DEP_3) | instskip(NEXT) | instid1(VALU_DEP_3)
	v_xor_b32_e32 v33, v30, v33
	v_add_nc_u32_e32 v37, v34, v37
	s_delay_alu instid0(VALU_DEP_3) | instskip(NEXT) | instid1(VALU_DEP_4)
	v_alignbit_b32 v27, v27, v27, 20
	v_xor_b32_e32 v8, v36, v8
	s_delay_alu instid0(VALU_DEP_4) | instskip(NEXT) | instid1(VALU_DEP_3)
	v_alignbit_b32 v33, v33, v33, 20
	v_dual_add_nc_u32 v31, v27, v31 :: v_dual_bitop2_b32 v26, v37, v26 bitop3:0x14
	s_delay_alu instid0(VALU_DEP_3) | instskip(NEXT) | instid1(VALU_DEP_3)
	v_alignbit_b32 v8, v8, v8, 24
	v_add_nc_u32_e32 v28, v33, v28
	s_delay_alu instid0(VALU_DEP_3) | instskip(NEXT) | instid1(VALU_DEP_3)
	v_alignbit_b32 v26, v26, v26, 25
	v_add_nc_u32_e32 v25, v8, v25
	s_delay_alu instid0(VALU_DEP_2) | instskip(NEXT) | instid1(VALU_DEP_2)
	v_dual_add_nc_u32 v28, v26, v28 :: v_dual_bitop2_b32 v9, v28, v9 bitop3:0x14
	v_xor_b32_e32 v32, v25, v32
	s_delay_alu instid0(VALU_DEP_2) | instskip(NEXT) | instid1(VALU_DEP_3)
	v_alignbit_b32 v9, v9, v9, 24
	v_xor_b32_e32 v8, v28, v8
	s_delay_alu instid0(VALU_DEP_3) | instskip(NEXT) | instid1(VALU_DEP_3)
	v_alignbit_b32 v32, v32, v32, 25
	v_dual_add_nc_u32 v30, v9, v30 :: v_dual_bitop2_b32 v35, v31, v35 bitop3:0x14
	s_delay_alu instid0(VALU_DEP_3) | instskip(NEXT) | instid1(VALU_DEP_2)
	v_alignbit_b32 v8, v8, v8, 16
	v_dual_add_nc_u32 v31, v32, v31 :: v_dual_bitop2_b32 v33, v30, v33 bitop3:0x14
	s_delay_alu instid0(VALU_DEP_1) | instskip(NEXT) | instid1(VALU_DEP_1)
	v_xor_b32_e32 v34, v31, v34
	v_alignbit_b32 v34, v34, v34, 16
	s_delay_alu instid0(VALU_DEP_1) | instskip(SKIP_1) | instid1(VALU_DEP_1)
	v_add_nc_u32_e32 v30, v34, v30
	v_alignbit_b32 v35, v35, v35, 24
	v_dual_add_nc_u32 v10, v35, v10 :: v_dual_bitop2_b32 v32, v30, v32 bitop3:0x14
	s_delay_alu instid0(VALU_DEP_1) | instskip(NEXT) | instid1(VALU_DEP_1)
	v_alignbit_b32 v32, v32, v32, 20
	v_add_nc_u32_e32 v31, v32, v31
	v_alignbit_b32 v33, v33, v33, 25
	s_delay_alu instid0(VALU_DEP_1) | instskip(SKIP_1) | instid1(VALU_DEP_2)
	v_dual_add_nc_u32 v36, v33, v36 :: v_dual_bitop2_b32 v34, v31, v34 bitop3:0x14
	v_dual_add_nc_u32 v10, v8, v10 :: v_dual_bitop2_b32 v27, v10, v27 bitop3:0x14
	v_alignbit_b32 v34, v34, v34, 24
	s_delay_alu instid0(VALU_DEP_2) | instskip(NEXT) | instid1(VALU_DEP_4)
	v_alignbit_b32 v27, v27, v27, 25
	v_xor_b32_e32 v35, v36, v35
	s_delay_alu instid0(VALU_DEP_4) | instskip(NEXT) | instid1(VALU_DEP_3)
	v_xor_b32_e32 v26, v10, v26
	v_dual_add_nc_u32 v30, v34, v30 :: v_dual_add_nc_u32 v29, v27, v29
	s_delay_alu instid0(VALU_DEP_3) | instskip(NEXT) | instid1(VALU_DEP_3)
	v_alignbit_b32 v35, v35, v35, 16
	v_alignbit_b32 v26, v26, v26, 20
	s_delay_alu instid0(VALU_DEP_3) | instskip(NEXT) | instid1(VALU_DEP_2)
	v_xor_b32_e32 v9, v29, v9
	v_dual_add_nc_u32 v37, v35, v37 :: v_dual_add_nc_u32 v28, v26, v28
	s_delay_alu instid0(VALU_DEP_2) | instskip(NEXT) | instid1(VALU_DEP_2)
	v_alignbit_b32 v9, v9, v9, 16
	v_xor_b32_e32 v33, v37, v33
	s_delay_alu instid0(VALU_DEP_2) | instskip(NEXT) | instid1(VALU_DEP_2)
	v_dual_add_nc_u32 v25, v9, v25 :: v_dual_bitop2_b32 v8, v28, v8 bitop3:0x14
	v_alignbit_b32 v33, v33, v33, 20
	s_delay_alu instid0(VALU_DEP_2) | instskip(NEXT) | instid1(VALU_DEP_3)
	v_alignbit_b32 v8, v8, v8, 24
	v_xor_b32_e32 v27, v25, v27
	s_delay_alu instid0(VALU_DEP_2) | instskip(NEXT) | instid1(VALU_DEP_2)
	v_dual_add_nc_u32 v36, v33, v36 :: v_dual_add_nc_u32 v10, v8, v10
	v_alignbit_b32 v27, v27, v27, 20
	s_delay_alu instid0(VALU_DEP_1) | instskip(NEXT) | instid1(VALU_DEP_1)
	v_dual_add_nc_u32 v29, v27, v29 :: v_dual_bitop2_b32 v35, v36, v35 bitop3:0x14
	v_alignbit_b32 v35, v35, v35, 24
	s_delay_alu instid0(VALU_DEP_2) | instskip(NEXT) | instid1(VALU_DEP_2)
	v_xor_b32_e32 v9, v29, v9
	v_add_nc_u32_e32 v37, v35, v37
	s_delay_alu instid0(VALU_DEP_2) | instskip(NEXT) | instid1(VALU_DEP_1)
	v_alignbit_b32 v9, v9, v9, 24
	v_dual_add_nc_u32 v25, v9, v25 :: v_dual_bitop2_b32 v32, v30, v32 bitop3:0x14
	s_delay_alu instid0(VALU_DEP_1) | instskip(NEXT) | instid1(VALU_DEP_1)
	v_alignbit_b32 v32, v32, v32, 25
	v_dual_add_nc_u32 v36, v32, v36 :: v_dual_bitop2_b32 v26, v10, v26 bitop3:0x14
	s_delay_alu instid0(VALU_DEP_1) | instskip(NEXT) | instid1(VALU_DEP_1)
	v_alignbit_b32 v26, v26, v26, 25
	v_dual_add_nc_u32 v29, v26, v29 :: v_dual_bitop2_b32 v8, v36, v8 bitop3:0x14
	s_delay_alu instid0(VALU_DEP_1) | instskip(NEXT) | instid1(VALU_DEP_2)
	v_alignbit_b32 v8, v8, v8, 16
	v_xor_b32_e32 v34, v29, v34
	s_delay_alu instid0(VALU_DEP_1) | instskip(NEXT) | instid1(VALU_DEP_3)
	v_alignbit_b32 v34, v34, v34, 16
	v_dual_add_nc_u32 v25, v8, v25 :: v_dual_bitop2_b32 v27, v25, v27 bitop3:0x14
	s_delay_alu instid0(VALU_DEP_1) | instskip(SKIP_1) | instid1(VALU_DEP_2)
	v_alignbit_b32 v27, v27, v27, 25
	v_xor_b32_e32 v33, v37, v33
	v_dual_add_nc_u32 v37, v34, v37 :: v_dual_add_nc_u32 v31, v27, v31
	s_delay_alu instid0(VALU_DEP_2) | instskip(NEXT) | instid1(VALU_DEP_2)
	v_alignbit_b32 v33, v33, v33, 25
	v_xor_b32_e32 v26, v37, v26
	s_delay_alu instid0(VALU_DEP_2) | instskip(NEXT) | instid1(VALU_DEP_2)
	v_add_nc_u32_e32 v28, v33, v28
	v_alignbit_b32 v26, v26, v26, 20
	v_xor_b32_e32 v35, v31, v35
	s_delay_alu instid0(VALU_DEP_3) | instskip(NEXT) | instid1(VALU_DEP_3)
	v_xor_b32_e32 v9, v28, v9
	v_add_nc_u32_e32 v29, v26, v29
	s_delay_alu instid0(VALU_DEP_3) | instskip(SKIP_1) | instid1(VALU_DEP_4)
	v_alignbit_b32 v35, v35, v35, 16
	v_xor_b32_e32 v32, v25, v32
	v_alignbit_b32 v9, v9, v9, 16
	s_delay_alu instid0(VALU_DEP_4) | instskip(NEXT) | instid1(VALU_DEP_4)
	v_xor_b32_e32 v34, v29, v34
	v_add_nc_u32_e32 v10, v35, v10
	s_delay_alu instid0(VALU_DEP_4) | instskip(NEXT) | instid1(VALU_DEP_4)
	v_alignbit_b32 v32, v32, v32, 20
	v_add_nc_u32_e32 v30, v9, v30
	s_delay_alu instid0(VALU_DEP_4) | instskip(NEXT) | instid1(VALU_DEP_3)
	v_alignbit_b32 v34, v34, v34, 24
	v_dual_add_nc_u32 v36, v32, v36 :: v_dual_bitop2_b32 v27, v10, v27 bitop3:0x14
	s_delay_alu instid0(VALU_DEP_3) | instskip(NEXT) | instid1(VALU_DEP_3)
	v_xor_b32_e32 v33, v30, v33
	v_add_nc_u32_e32 v37, v34, v37
	s_delay_alu instid0(VALU_DEP_3) | instskip(NEXT) | instid1(VALU_DEP_4)
	v_alignbit_b32 v27, v27, v27, 20
	v_xor_b32_e32 v8, v36, v8
	s_delay_alu instid0(VALU_DEP_4) | instskip(NEXT) | instid1(VALU_DEP_3)
	v_alignbit_b32 v33, v33, v33, 20
	v_dual_add_nc_u32 v31, v27, v31 :: v_dual_bitop2_b32 v26, v37, v26 bitop3:0x14
	s_delay_alu instid0(VALU_DEP_3) | instskip(NEXT) | instid1(VALU_DEP_3)
	v_alignbit_b32 v8, v8, v8, 24
	v_add_nc_u32_e32 v28, v33, v28
	s_delay_alu instid0(VALU_DEP_3) | instskip(NEXT) | instid1(VALU_DEP_3)
	v_alignbit_b32 v26, v26, v26, 25
	v_add_nc_u32_e32 v25, v8, v25
	s_delay_alu instid0(VALU_DEP_2) | instskip(NEXT) | instid1(VALU_DEP_2)
	v_dual_add_nc_u32 v28, v26, v28 :: v_dual_bitop2_b32 v9, v28, v9 bitop3:0x14
	v_xor_b32_e32 v32, v25, v32
	s_delay_alu instid0(VALU_DEP_2) | instskip(NEXT) | instid1(VALU_DEP_3)
	v_alignbit_b32 v9, v9, v9, 24
	v_xor_b32_e32 v8, v28, v8
	s_delay_alu instid0(VALU_DEP_3) | instskip(NEXT) | instid1(VALU_DEP_3)
	v_alignbit_b32 v32, v32, v32, 25
	v_dual_add_nc_u32 v30, v9, v30 :: v_dual_bitop2_b32 v35, v31, v35 bitop3:0x14
	s_delay_alu instid0(VALU_DEP_3) | instskip(NEXT) | instid1(VALU_DEP_2)
	v_alignbit_b32 v8, v8, v8, 16
	v_dual_add_nc_u32 v31, v32, v31 :: v_dual_bitop2_b32 v33, v30, v33 bitop3:0x14
	s_delay_alu instid0(VALU_DEP_1) | instskip(NEXT) | instid1(VALU_DEP_1)
	v_xor_b32_e32 v34, v31, v34
	v_alignbit_b32 v34, v34, v34, 16
	s_delay_alu instid0(VALU_DEP_1) | instskip(SKIP_1) | instid1(VALU_DEP_1)
	v_add_nc_u32_e32 v30, v34, v30
	v_alignbit_b32 v35, v35, v35, 24
	v_dual_add_nc_u32 v10, v35, v10 :: v_dual_bitop2_b32 v32, v30, v32 bitop3:0x14
	s_delay_alu instid0(VALU_DEP_1) | instskip(NEXT) | instid1(VALU_DEP_1)
	v_alignbit_b32 v32, v32, v32, 20
	v_add_nc_u32_e32 v31, v32, v31
	v_alignbit_b32 v33, v33, v33, 25
	s_delay_alu instid0(VALU_DEP_1) | instskip(SKIP_1) | instid1(VALU_DEP_2)
	v_dual_add_nc_u32 v36, v33, v36 :: v_dual_bitop2_b32 v34, v31, v34 bitop3:0x14
	v_dual_add_nc_u32 v10, v8, v10 :: v_dual_bitop2_b32 v27, v10, v27 bitop3:0x14
	v_alignbit_b32 v34, v34, v34, 24
	s_delay_alu instid0(VALU_DEP_2) | instskip(NEXT) | instid1(VALU_DEP_4)
	v_alignbit_b32 v27, v27, v27, 25
	v_xor_b32_e32 v35, v36, v35
	s_delay_alu instid0(VALU_DEP_4) | instskip(NEXT) | instid1(VALU_DEP_3)
	v_xor_b32_e32 v26, v10, v26
	v_dual_add_nc_u32 v30, v34, v30 :: v_dual_add_nc_u32 v29, v27, v29
	s_delay_alu instid0(VALU_DEP_3) | instskip(NEXT) | instid1(VALU_DEP_3)
	v_alignbit_b32 v35, v35, v35, 16
	v_alignbit_b32 v26, v26, v26, 20
	s_delay_alu instid0(VALU_DEP_3) | instskip(NEXT) | instid1(VALU_DEP_2)
	v_xor_b32_e32 v9, v29, v9
	v_dual_add_nc_u32 v37, v35, v37 :: v_dual_add_nc_u32 v28, v26, v28
	s_delay_alu instid0(VALU_DEP_2) | instskip(NEXT) | instid1(VALU_DEP_2)
	v_alignbit_b32 v9, v9, v9, 16
	v_xor_b32_e32 v33, v37, v33
	s_delay_alu instid0(VALU_DEP_2) | instskip(NEXT) | instid1(VALU_DEP_2)
	v_dual_add_nc_u32 v25, v9, v25 :: v_dual_bitop2_b32 v8, v28, v8 bitop3:0x14
	v_alignbit_b32 v33, v33, v33, 20
	s_delay_alu instid0(VALU_DEP_2) | instskip(NEXT) | instid1(VALU_DEP_3)
	v_alignbit_b32 v8, v8, v8, 24
	v_xor_b32_e32 v27, v25, v27
	s_delay_alu instid0(VALU_DEP_2) | instskip(NEXT) | instid1(VALU_DEP_2)
	v_dual_add_nc_u32 v36, v33, v36 :: v_dual_add_nc_u32 v10, v8, v10
	v_alignbit_b32 v27, v27, v27, 20
	s_delay_alu instid0(VALU_DEP_1) | instskip(NEXT) | instid1(VALU_DEP_1)
	v_dual_add_nc_u32 v29, v27, v29 :: v_dual_bitop2_b32 v35, v36, v35 bitop3:0x14
	v_alignbit_b32 v35, v35, v35, 24
	s_delay_alu instid0(VALU_DEP_2) | instskip(NEXT) | instid1(VALU_DEP_2)
	v_xor_b32_e32 v9, v29, v9
	v_add_nc_u32_e32 v37, v35, v37
	s_delay_alu instid0(VALU_DEP_2) | instskip(NEXT) | instid1(VALU_DEP_1)
	v_alignbit_b32 v9, v9, v9, 24
	v_dual_add_nc_u32 v25, v9, v25 :: v_dual_bitop2_b32 v32, v30, v32 bitop3:0x14
	s_delay_alu instid0(VALU_DEP_1) | instskip(NEXT) | instid1(VALU_DEP_1)
	v_alignbit_b32 v32, v32, v32, 25
	v_dual_add_nc_u32 v36, v32, v36 :: v_dual_bitop2_b32 v26, v10, v26 bitop3:0x14
	s_delay_alu instid0(VALU_DEP_1) | instskip(NEXT) | instid1(VALU_DEP_1)
	v_alignbit_b32 v26, v26, v26, 25
	v_dual_add_nc_u32 v29, v26, v29 :: v_dual_bitop2_b32 v8, v36, v8 bitop3:0x14
	s_delay_alu instid0(VALU_DEP_1) | instskip(NEXT) | instid1(VALU_DEP_2)
	v_alignbit_b32 v8, v8, v8, 16
	v_xor_b32_e32 v34, v29, v34
	s_delay_alu instid0(VALU_DEP_1) | instskip(NEXT) | instid1(VALU_DEP_3)
	v_alignbit_b32 v34, v34, v34, 16
	v_dual_add_nc_u32 v25, v8, v25 :: v_dual_bitop2_b32 v27, v25, v27 bitop3:0x14
	s_delay_alu instid0(VALU_DEP_1) | instskip(SKIP_1) | instid1(VALU_DEP_2)
	v_alignbit_b32 v27, v27, v27, 25
	v_xor_b32_e32 v33, v37, v33
	v_dual_add_nc_u32 v37, v34, v37 :: v_dual_add_nc_u32 v31, v27, v31
	s_delay_alu instid0(VALU_DEP_2) | instskip(NEXT) | instid1(VALU_DEP_2)
	v_alignbit_b32 v33, v33, v33, 25
	v_xor_b32_e32 v26, v37, v26
	s_delay_alu instid0(VALU_DEP_2) | instskip(NEXT) | instid1(VALU_DEP_2)
	v_add_nc_u32_e32 v28, v33, v28
	v_alignbit_b32 v26, v26, v26, 20
	v_xor_b32_e32 v35, v31, v35
	s_delay_alu instid0(VALU_DEP_3) | instskip(NEXT) | instid1(VALU_DEP_3)
	v_xor_b32_e32 v9, v28, v9
	v_add_nc_u32_e32 v29, v26, v29
	s_delay_alu instid0(VALU_DEP_3) | instskip(SKIP_1) | instid1(VALU_DEP_4)
	v_alignbit_b32 v35, v35, v35, 16
	v_xor_b32_e32 v32, v25, v32
	v_alignbit_b32 v9, v9, v9, 16
	s_delay_alu instid0(VALU_DEP_4) | instskip(NEXT) | instid1(VALU_DEP_4)
	v_xor_b32_e32 v34, v29, v34
	v_add_nc_u32_e32 v10, v35, v10
	s_delay_alu instid0(VALU_DEP_4) | instskip(NEXT) | instid1(VALU_DEP_4)
	v_alignbit_b32 v32, v32, v32, 20
	v_add_nc_u32_e32 v30, v9, v30
	s_delay_alu instid0(VALU_DEP_4) | instskip(NEXT) | instid1(VALU_DEP_3)
	v_alignbit_b32 v34, v34, v34, 24
	v_dual_add_nc_u32 v36, v32, v36 :: v_dual_bitop2_b32 v27, v10, v27 bitop3:0x14
	s_delay_alu instid0(VALU_DEP_3) | instskip(NEXT) | instid1(VALU_DEP_3)
	v_xor_b32_e32 v33, v30, v33
	v_add_nc_u32_e32 v37, v34, v37
	s_delay_alu instid0(VALU_DEP_3) | instskip(NEXT) | instid1(VALU_DEP_4)
	v_alignbit_b32 v27, v27, v27, 20
	v_xor_b32_e32 v8, v36, v8
	s_delay_alu instid0(VALU_DEP_4) | instskip(NEXT) | instid1(VALU_DEP_3)
	v_alignbit_b32 v33, v33, v33, 20
	v_dual_add_nc_u32 v31, v27, v31 :: v_dual_bitop2_b32 v26, v37, v26 bitop3:0x14
	s_delay_alu instid0(VALU_DEP_3) | instskip(NEXT) | instid1(VALU_DEP_3)
	v_alignbit_b32 v8, v8, v8, 24
	v_add_nc_u32_e32 v28, v33, v28
	s_delay_alu instid0(VALU_DEP_3) | instskip(NEXT) | instid1(VALU_DEP_3)
	v_alignbit_b32 v26, v26, v26, 25
	v_add_nc_u32_e32 v25, v8, v25
	s_delay_alu instid0(VALU_DEP_2) | instskip(NEXT) | instid1(VALU_DEP_2)
	v_dual_add_nc_u32 v28, v26, v28 :: v_dual_bitop2_b32 v9, v28, v9 bitop3:0x14
	v_xor_b32_e32 v32, v25, v32
	s_delay_alu instid0(VALU_DEP_2) | instskip(NEXT) | instid1(VALU_DEP_3)
	v_alignbit_b32 v9, v9, v9, 24
	v_xor_b32_e32 v8, v28, v8
	s_delay_alu instid0(VALU_DEP_3) | instskip(NEXT) | instid1(VALU_DEP_3)
	v_alignbit_b32 v32, v32, v32, 25
	v_dual_add_nc_u32 v30, v9, v30 :: v_dual_bitop2_b32 v35, v31, v35 bitop3:0x14
	s_delay_alu instid0(VALU_DEP_3) | instskip(NEXT) | instid1(VALU_DEP_2)
	v_alignbit_b32 v8, v8, v8, 16
	v_dual_add_nc_u32 v31, v32, v31 :: v_dual_bitop2_b32 v33, v30, v33 bitop3:0x14
	s_delay_alu instid0(VALU_DEP_1) | instskip(NEXT) | instid1(VALU_DEP_1)
	v_xor_b32_e32 v34, v31, v34
	v_alignbit_b32 v34, v34, v34, 16
	s_delay_alu instid0(VALU_DEP_1) | instskip(SKIP_1) | instid1(VALU_DEP_1)
	v_add_nc_u32_e32 v30, v34, v30
	v_alignbit_b32 v35, v35, v35, 24
	v_dual_add_nc_u32 v10, v35, v10 :: v_dual_bitop2_b32 v32, v30, v32 bitop3:0x14
	s_delay_alu instid0(VALU_DEP_1) | instskip(NEXT) | instid1(VALU_DEP_1)
	v_alignbit_b32 v32, v32, v32, 20
	v_add_nc_u32_e32 v31, v32, v31
	v_alignbit_b32 v33, v33, v33, 25
	s_delay_alu instid0(VALU_DEP_1) | instskip(SKIP_1) | instid1(VALU_DEP_2)
	v_dual_add_nc_u32 v36, v33, v36 :: v_dual_bitop2_b32 v34, v31, v34 bitop3:0x14
	v_dual_add_nc_u32 v10, v8, v10 :: v_dual_bitop2_b32 v27, v10, v27 bitop3:0x14
	v_alignbit_b32 v34, v34, v34, 24
	s_delay_alu instid0(VALU_DEP_2) | instskip(NEXT) | instid1(VALU_DEP_4)
	v_alignbit_b32 v27, v27, v27, 25
	v_xor_b32_e32 v35, v36, v35
	s_delay_alu instid0(VALU_DEP_4) | instskip(NEXT) | instid1(VALU_DEP_3)
	v_xor_b32_e32 v26, v10, v26
	v_dual_add_nc_u32 v30, v34, v30 :: v_dual_add_nc_u32 v29, v27, v29
	s_delay_alu instid0(VALU_DEP_3) | instskip(NEXT) | instid1(VALU_DEP_3)
	v_alignbit_b32 v35, v35, v35, 16
	v_alignbit_b32 v26, v26, v26, 20
	s_delay_alu instid0(VALU_DEP_3) | instskip(NEXT) | instid1(VALU_DEP_2)
	v_xor_b32_e32 v9, v29, v9
	v_dual_add_nc_u32 v37, v35, v37 :: v_dual_add_nc_u32 v28, v26, v28
	s_delay_alu instid0(VALU_DEP_2) | instskip(NEXT) | instid1(VALU_DEP_2)
	v_alignbit_b32 v9, v9, v9, 16
	v_xor_b32_e32 v33, v37, v33
	s_delay_alu instid0(VALU_DEP_2) | instskip(NEXT) | instid1(VALU_DEP_2)
	v_dual_add_nc_u32 v25, v9, v25 :: v_dual_bitop2_b32 v8, v28, v8 bitop3:0x14
	v_alignbit_b32 v33, v33, v33, 20
	s_delay_alu instid0(VALU_DEP_2) | instskip(NEXT) | instid1(VALU_DEP_3)
	v_alignbit_b32 v8, v8, v8, 24
	v_xor_b32_e32 v27, v25, v27
	s_delay_alu instid0(VALU_DEP_2) | instskip(NEXT) | instid1(VALU_DEP_2)
	v_dual_add_nc_u32 v36, v33, v36 :: v_dual_add_nc_u32 v10, v8, v10
	v_alignbit_b32 v27, v27, v27, 20
	s_delay_alu instid0(VALU_DEP_1) | instskip(NEXT) | instid1(VALU_DEP_1)
	v_dual_add_nc_u32 v29, v27, v29 :: v_dual_bitop2_b32 v35, v36, v35 bitop3:0x14
	v_alignbit_b32 v35, v35, v35, 24
	s_delay_alu instid0(VALU_DEP_2) | instskip(NEXT) | instid1(VALU_DEP_2)
	v_xor_b32_e32 v9, v29, v9
	v_add_nc_u32_e32 v37, v35, v37
	s_delay_alu instid0(VALU_DEP_2) | instskip(NEXT) | instid1(VALU_DEP_1)
	v_alignbit_b32 v9, v9, v9, 24
	v_dual_add_nc_u32 v25, v9, v25 :: v_dual_bitop2_b32 v32, v30, v32 bitop3:0x14
	s_delay_alu instid0(VALU_DEP_1) | instskip(NEXT) | instid1(VALU_DEP_1)
	v_alignbit_b32 v32, v32, v32, 25
	v_dual_add_nc_u32 v36, v32, v36 :: v_dual_bitop2_b32 v26, v10, v26 bitop3:0x14
	s_delay_alu instid0(VALU_DEP_1) | instskip(NEXT) | instid1(VALU_DEP_1)
	v_alignbit_b32 v26, v26, v26, 25
	v_dual_add_nc_u32 v29, v26, v29 :: v_dual_bitop2_b32 v8, v36, v8 bitop3:0x14
	s_delay_alu instid0(VALU_DEP_1) | instskip(NEXT) | instid1(VALU_DEP_2)
	v_alignbit_b32 v8, v8, v8, 16
	v_xor_b32_e32 v34, v29, v34
	s_delay_alu instid0(VALU_DEP_1) | instskip(NEXT) | instid1(VALU_DEP_3)
	v_alignbit_b32 v34, v34, v34, 16
	v_dual_add_nc_u32 v25, v8, v25 :: v_dual_bitop2_b32 v27, v25, v27 bitop3:0x14
	s_delay_alu instid0(VALU_DEP_1) | instskip(SKIP_1) | instid1(VALU_DEP_2)
	v_alignbit_b32 v27, v27, v27, 25
	v_xor_b32_e32 v33, v37, v33
	v_dual_add_nc_u32 v37, v34, v37 :: v_dual_add_nc_u32 v31, v27, v31
	s_delay_alu instid0(VALU_DEP_2) | instskip(NEXT) | instid1(VALU_DEP_2)
	v_alignbit_b32 v33, v33, v33, 25
	v_xor_b32_e32 v26, v37, v26
	s_delay_alu instid0(VALU_DEP_2) | instskip(NEXT) | instid1(VALU_DEP_2)
	v_add_nc_u32_e32 v28, v33, v28
	v_alignbit_b32 v26, v26, v26, 20
	v_xor_b32_e32 v35, v31, v35
	s_delay_alu instid0(VALU_DEP_3) | instskip(NEXT) | instid1(VALU_DEP_3)
	v_xor_b32_e32 v9, v28, v9
	v_add_nc_u32_e32 v29, v26, v29
	s_delay_alu instid0(VALU_DEP_3) | instskip(SKIP_1) | instid1(VALU_DEP_4)
	v_alignbit_b32 v35, v35, v35, 16
	v_xor_b32_e32 v32, v25, v32
	v_alignbit_b32 v9, v9, v9, 16
	s_delay_alu instid0(VALU_DEP_4) | instskip(NEXT) | instid1(VALU_DEP_4)
	v_xor_b32_e32 v34, v29, v34
	v_add_nc_u32_e32 v10, v35, v10
	s_delay_alu instid0(VALU_DEP_4) | instskip(NEXT) | instid1(VALU_DEP_4)
	v_alignbit_b32 v32, v32, v32, 20
	v_add_nc_u32_e32 v30, v9, v30
	s_delay_alu instid0(VALU_DEP_4) | instskip(NEXT) | instid1(VALU_DEP_3)
	v_alignbit_b32 v34, v34, v34, 24
	v_dual_add_nc_u32 v36, v32, v36 :: v_dual_bitop2_b32 v27, v10, v27 bitop3:0x14
	s_delay_alu instid0(VALU_DEP_3) | instskip(NEXT) | instid1(VALU_DEP_3)
	v_xor_b32_e32 v33, v30, v33
	v_add_nc_u32_e32 v37, v34, v37
	s_delay_alu instid0(VALU_DEP_3) | instskip(NEXT) | instid1(VALU_DEP_4)
	v_alignbit_b32 v27, v27, v27, 20
	v_xor_b32_e32 v8, v36, v8
	s_delay_alu instid0(VALU_DEP_4) | instskip(NEXT) | instid1(VALU_DEP_3)
	v_alignbit_b32 v33, v33, v33, 20
	v_dual_add_nc_u32 v31, v27, v31 :: v_dual_bitop2_b32 v26, v37, v26 bitop3:0x14
	s_delay_alu instid0(VALU_DEP_3) | instskip(NEXT) | instid1(VALU_DEP_3)
	v_alignbit_b32 v8, v8, v8, 24
	v_add_nc_u32_e32 v28, v33, v28
	s_delay_alu instid0(VALU_DEP_3) | instskip(NEXT) | instid1(VALU_DEP_3)
	v_alignbit_b32 v26, v26, v26, 25
	v_add_nc_u32_e32 v25, v8, v25
	s_delay_alu instid0(VALU_DEP_2) | instskip(NEXT) | instid1(VALU_DEP_2)
	v_dual_add_nc_u32 v28, v26, v28 :: v_dual_bitop2_b32 v9, v28, v9 bitop3:0x14
	v_xor_b32_e32 v32, v25, v32
	s_delay_alu instid0(VALU_DEP_2) | instskip(NEXT) | instid1(VALU_DEP_3)
	v_alignbit_b32 v9, v9, v9, 24
	v_xor_b32_e32 v8, v28, v8
	s_delay_alu instid0(VALU_DEP_3) | instskip(NEXT) | instid1(VALU_DEP_3)
	v_alignbit_b32 v32, v32, v32, 25
	v_dual_add_nc_u32 v30, v9, v30 :: v_dual_bitop2_b32 v35, v31, v35 bitop3:0x14
	s_delay_alu instid0(VALU_DEP_3) | instskip(NEXT) | instid1(VALU_DEP_2)
	v_alignbit_b32 v8, v8, v8, 16
	v_dual_add_nc_u32 v31, v32, v31 :: v_dual_bitop2_b32 v33, v30, v33 bitop3:0x14
	s_delay_alu instid0(VALU_DEP_1) | instskip(NEXT) | instid1(VALU_DEP_1)
	v_xor_b32_e32 v34, v31, v34
	v_alignbit_b32 v34, v34, v34, 16
	s_delay_alu instid0(VALU_DEP_1) | instskip(SKIP_1) | instid1(VALU_DEP_1)
	v_add_nc_u32_e32 v30, v34, v30
	v_alignbit_b32 v35, v35, v35, 24
	v_dual_add_nc_u32 v10, v35, v10 :: v_dual_bitop2_b32 v32, v30, v32 bitop3:0x14
	s_delay_alu instid0(VALU_DEP_1) | instskip(NEXT) | instid1(VALU_DEP_1)
	v_alignbit_b32 v32, v32, v32, 20
	v_add_nc_u32_e32 v31, v32, v31
	v_alignbit_b32 v33, v33, v33, 25
	s_delay_alu instid0(VALU_DEP_1) | instskip(SKIP_1) | instid1(VALU_DEP_2)
	v_dual_add_nc_u32 v36, v33, v36 :: v_dual_bitop2_b32 v34, v31, v34 bitop3:0x14
	v_dual_add_nc_u32 v10, v8, v10 :: v_dual_bitop2_b32 v27, v10, v27 bitop3:0x14
	v_alignbit_b32 v34, v34, v34, 24
	s_delay_alu instid0(VALU_DEP_2) | instskip(NEXT) | instid1(VALU_DEP_4)
	v_alignbit_b32 v27, v27, v27, 25
	v_xor_b32_e32 v35, v36, v35
	s_delay_alu instid0(VALU_DEP_4) | instskip(NEXT) | instid1(VALU_DEP_3)
	v_xor_b32_e32 v26, v10, v26
	v_dual_add_nc_u32 v30, v34, v30 :: v_dual_add_nc_u32 v29, v27, v29
	s_delay_alu instid0(VALU_DEP_3) | instskip(NEXT) | instid1(VALU_DEP_3)
	v_alignbit_b32 v35, v35, v35, 16
	v_alignbit_b32 v26, v26, v26, 20
	s_delay_alu instid0(VALU_DEP_3) | instskip(NEXT) | instid1(VALU_DEP_2)
	v_xor_b32_e32 v9, v29, v9
	v_dual_add_nc_u32 v37, v35, v37 :: v_dual_add_nc_u32 v28, v26, v28
	s_delay_alu instid0(VALU_DEP_2) | instskip(NEXT) | instid1(VALU_DEP_2)
	v_alignbit_b32 v9, v9, v9, 16
	v_xor_b32_e32 v33, v37, v33
	s_delay_alu instid0(VALU_DEP_2) | instskip(NEXT) | instid1(VALU_DEP_2)
	v_dual_add_nc_u32 v25, v9, v25 :: v_dual_bitop2_b32 v8, v28, v8 bitop3:0x14
	v_alignbit_b32 v33, v33, v33, 20
	s_delay_alu instid0(VALU_DEP_2) | instskip(NEXT) | instid1(VALU_DEP_3)
	v_alignbit_b32 v8, v8, v8, 24
	v_xor_b32_e32 v27, v25, v27
	s_delay_alu instid0(VALU_DEP_2) | instskip(NEXT) | instid1(VALU_DEP_2)
	v_dual_add_nc_u32 v36, v33, v36 :: v_dual_add_nc_u32 v10, v8, v10
	v_alignbit_b32 v27, v27, v27, 20
	s_delay_alu instid0(VALU_DEP_1) | instskip(NEXT) | instid1(VALU_DEP_1)
	v_dual_add_nc_u32 v29, v27, v29 :: v_dual_bitop2_b32 v35, v36, v35 bitop3:0x14
	v_alignbit_b32 v35, v35, v35, 24
	s_delay_alu instid0(VALU_DEP_2) | instskip(NEXT) | instid1(VALU_DEP_2)
	v_xor_b32_e32 v9, v29, v9
	v_add_nc_u32_e32 v37, v35, v37
	s_delay_alu instid0(VALU_DEP_2) | instskip(NEXT) | instid1(VALU_DEP_1)
	v_alignbit_b32 v9, v9, v9, 24
	v_dual_add_nc_u32 v25, v9, v25 :: v_dual_bitop2_b32 v32, v30, v32 bitop3:0x14
	s_delay_alu instid0(VALU_DEP_1) | instskip(NEXT) | instid1(VALU_DEP_1)
	v_alignbit_b32 v32, v32, v32, 25
	v_dual_add_nc_u32 v36, v32, v36 :: v_dual_bitop2_b32 v27, v25, v27 bitop3:0x14
	s_delay_alu instid0(VALU_DEP_1) | instskip(NEXT) | instid1(VALU_DEP_1)
	;; [unrolled: 3-line block ×4, first 2 shown]
	v_alignbit_b32 v35, v35, v35, 16
	v_dual_add_nc_u32 v39, v35, v10 :: v_dual_bitop2_b32 v9, v28, v9 bitop3:0x14
	s_delay_alu instid0(VALU_DEP_1) | instskip(SKIP_1) | instid1(VALU_DEP_2)
	v_alignbit_b32 v9, v9, v9, 16
	v_xor_b32_e32 v8, v36, v8
	v_dual_add_nc_u32 v30, v9, v30 :: v_dual_bitop2_b32 v27, v39, v27 bitop3:0x14
	s_delay_alu instid0(VALU_DEP_2) | instskip(SKIP_1) | instid1(VALU_DEP_3)
	v_alignbit_b32 v8, v8, v8, 16
	v_xor_b32_e32 v26, v10, v26
	v_alignbit_b32 v40, v27, v27, 20
	s_delay_alu instid0(VALU_DEP_4) | instskip(NEXT) | instid1(VALU_DEP_4)
	v_xor_b32_e32 v33, v30, v33
	v_add_nc_u32_e32 v25, v8, v25
	s_delay_alu instid0(VALU_DEP_4) | instskip(NEXT) | instid1(VALU_DEP_4)
	v_alignbit_b32 v26, v26, v26, 25
	v_add_nc_u32_e32 v41, v40, v31
	s_delay_alu instid0(VALU_DEP_4) | instskip(NEXT) | instid1(VALU_DEP_3)
	v_alignbit_b32 v33, v33, v33, 20
	v_dual_add_nc_u32 v29, v26, v29 :: v_dual_bitop2_b32 v32, v25, v32 bitop3:0x14
	s_delay_alu instid0(VALU_DEP_2) | instskip(NEXT) | instid1(VALU_DEP_2)
	v_add_nc_u32_e32 v28, v33, v28
	v_alignbit_b32 v32, v32, v32, 20
	s_delay_alu instid0(VALU_DEP_2) | instskip(NEXT) | instid1(VALU_DEP_2)
	v_xor_b32_e32 v9, v28, v9
	v_add_nc_u32_e32 v36, v32, v36
	s_delay_alu instid0(VALU_DEP_1) | instskip(SKIP_1) | instid1(VALU_DEP_2)
	v_xor_b32_e32 v8, v36, v8
	v_add_nc_u32_e32 v10, 0x79622d32, v36
	v_alignbit_b32 v8, v8, v8, 24
	v_xor_b32_e32 v34, v29, v34
	s_delay_alu instid0(VALU_DEP_1) | instskip(NEXT) | instid1(VALU_DEP_1)
	v_alignbit_b32 v34, v34, v34, 16
	v_add_nc_u32_e32 v37, v34, v37
	s_delay_alu instid0(VALU_DEP_1) | instskip(NEXT) | instid1(VALU_DEP_1)
	v_xor_b32_e32 v26, v37, v26
	v_alignbit_b32 v36, v26, v26, 20
	v_alignbit_b32 v26, v9, v9, 24
	v_add_nc_u32_e32 v9, 0x3320646e, v28
	v_dual_add_nc_u32 v28, s7, v8 :: v_dual_add_nc_u32 v8, v8, v25
	s_delay_alu instid0(VALU_DEP_3) | instskip(SKIP_1) | instid1(VALU_DEP_2)
	v_dual_add_nc_u32 v29, v36, v29 :: v_dual_add_nc_u32 v30, v26, v30
	v_dual_add_nc_u32 v27, v26, v24 :: v_dual_bitop2_b32 v26, v41, v35 bitop3:0x14
	v_dual_add_nc_u32 v31, v8, v4 :: v_dual_bitop2_b32 v25, v29, v34 bitop3:0x14
	v_dual_mov_b32 v24, v38 :: v_dual_bitop2_b32 v32, v8, v32 bitop3:0x14
	s_delay_alu instid0(VALU_DEP_3) | instskip(SKIP_1) | instid1(VALU_DEP_4)
	v_alignbit_b32 v35, v26, v26, 24
	v_xor_b32_e32 v33, v30, v33
	v_alignbit_b32 v25, v25, v25, 24
	v_add_nc_u32_e32 v26, v30, v7
	v_alignbit_b32 v30, v32, v32, 25
	v_add_nc_u32_e32 v39, v35, v39
	;; [unrolled: 2-line block ×3, first 2 shown]
	v_add_nc_u32_e32 v8, 0x61707865, v29
	s_delay_alu instid0(VALU_DEP_4) | instskip(NEXT) | instid1(VALU_DEP_3)
	v_dual_add_nc_u32 v30, v30, v3 :: v_dual_bitop2_b32 v33, v39, v40 bitop3:0x14
	v_dual_add_nc_u32 v37, v32, v2 :: v_dual_bitop2_b32 v29, v38, v36 bitop3:0x14
	v_add_nc_u32_e32 v32, v39, v5
	s_mov_b32 s7, s8
	s_delay_alu instid0(VALU_DEP_3)
	v_alignbit_b32 v40, v33, v33, 25
	v_add_nc_u32_e32 v33, v38, v6
	v_alignbit_b32 v36, v29, v29, 25
	v_add_nc_u32_e32 v29, v35, v12
	v_add_nc_u32_e32 v34, 0x6b206574, v41
	v_dual_add_nc_u32 v35, v40, v0 :: v_dual_add_nc_u32 v25, v25, v13
	s_delay_alu instid0(VALU_DEP_4)
	v_add_nc_u32_e32 v36, v36, v1
	s_clause 0x4
	scratch_store_b128 off, v[30:33], off offset:92
	scratch_store_b128 off, v[26:29], off offset:108
	scratch_store_b96 off, v[8:10], off offset:64
	scratch_store_b128 off, v[34:37], off offset:76
	scratch_store_b32 off, v25, off offset:124
	s_branch .LBB0_27
.LBB0_32:
	s_endpgm
	.section	.rodata,"a",@progbits
	.p2align	6, 0x0
	.amdhsa_kernel _Z15test_keystreamsPKcS0_S0_PKhPhS3_S3_S3_iii
		.amdhsa_group_segment_fixed_size 0
		.amdhsa_private_segment_fixed_size 144
		.amdhsa_kernarg_size 336
		.amdhsa_user_sgpr_count 2
		.amdhsa_user_sgpr_dispatch_ptr 0
		.amdhsa_user_sgpr_queue_ptr 0
		.amdhsa_user_sgpr_kernarg_segment_ptr 1
		.amdhsa_user_sgpr_dispatch_id 0
		.amdhsa_user_sgpr_kernarg_preload_length 0
		.amdhsa_user_sgpr_kernarg_preload_offset 0
		.amdhsa_user_sgpr_private_segment_size 0
		.amdhsa_wavefront_size32 1
		.amdhsa_uses_dynamic_stack 0
		.amdhsa_enable_private_segment 1
		.amdhsa_system_sgpr_workgroup_id_x 1
		.amdhsa_system_sgpr_workgroup_id_y 0
		.amdhsa_system_sgpr_workgroup_id_z 0
		.amdhsa_system_sgpr_workgroup_info 0
		.amdhsa_system_vgpr_workitem_id 0
		.amdhsa_next_free_vgpr 62
		.amdhsa_next_free_sgpr 19
		.amdhsa_named_barrier_count 0
		.amdhsa_reserve_vcc 1
		.amdhsa_float_round_mode_32 0
		.amdhsa_float_round_mode_16_64 0
		.amdhsa_float_denorm_mode_32 3
		.amdhsa_float_denorm_mode_16_64 3
		.amdhsa_fp16_overflow 0
		.amdhsa_memory_ordered 1
		.amdhsa_forward_progress 1
		.amdhsa_inst_pref_size 101
		.amdhsa_round_robin_scheduling 0
		.amdhsa_exception_fp_ieee_invalid_op 0
		.amdhsa_exception_fp_denorm_src 0
		.amdhsa_exception_fp_ieee_div_zero 0
		.amdhsa_exception_fp_ieee_overflow 0
		.amdhsa_exception_fp_ieee_underflow 0
		.amdhsa_exception_fp_ieee_inexact 0
		.amdhsa_exception_int_div_zero 0
	.end_amdhsa_kernel
	.text
.Lfunc_end0:
	.size	_Z15test_keystreamsPKcS0_S0_PKhPhS3_S3_S3_iii, .Lfunc_end0-_Z15test_keystreamsPKcS0_S0_PKhPhS3_S3_S3_iii
                                        ; -- End function
	.set _Z15test_keystreamsPKcS0_S0_PKhPhS3_S3_S3_iii.num_vgpr, 62
	.set _Z15test_keystreamsPKcS0_S0_PKhPhS3_S3_S3_iii.num_agpr, 0
	.set _Z15test_keystreamsPKcS0_S0_PKhPhS3_S3_S3_iii.numbered_sgpr, 19
	.set _Z15test_keystreamsPKcS0_S0_PKhPhS3_S3_S3_iii.num_named_barrier, 0
	.set _Z15test_keystreamsPKcS0_S0_PKhPhS3_S3_S3_iii.private_seg_size, 144
	.set _Z15test_keystreamsPKcS0_S0_PKhPhS3_S3_S3_iii.uses_vcc, 1
	.set _Z15test_keystreamsPKcS0_S0_PKhPhS3_S3_S3_iii.uses_flat_scratch, 1
	.set _Z15test_keystreamsPKcS0_S0_PKhPhS3_S3_S3_iii.has_dyn_sized_stack, 0
	.set _Z15test_keystreamsPKcS0_S0_PKhPhS3_S3_S3_iii.has_recursion, 0
	.set _Z15test_keystreamsPKcS0_S0_PKhPhS3_S3_S3_iii.has_indirect_call, 0
	.section	.AMDGPU.csdata,"",@progbits
; Kernel info:
; codeLenInByte = 12920
; TotalNumSgprs: 21
; NumVgprs: 62
; ScratchSize: 144
; MemoryBound: 0
; FloatMode: 240
; IeeeMode: 1
; LDSByteSize: 0 bytes/workgroup (compile time only)
; SGPRBlocks: 0
; VGPRBlocks: 3
; NumSGPRsForWavesPerEU: 21
; NumVGPRsForWavesPerEU: 62
; NamedBarCnt: 0
; Occupancy: 16
; WaveLimiterHint : 1
; COMPUTE_PGM_RSRC2:SCRATCH_EN: 1
; COMPUTE_PGM_RSRC2:USER_SGPR: 2
; COMPUTE_PGM_RSRC2:TRAP_HANDLER: 0
; COMPUTE_PGM_RSRC2:TGID_X_EN: 1
; COMPUTE_PGM_RSRC2:TGID_Y_EN: 0
; COMPUTE_PGM_RSRC2:TGID_Z_EN: 0
; COMPUTE_PGM_RSRC2:TIDIG_COMP_CNT: 0
	.text
	.p2alignl 7, 3214868480
	.fill 96, 4, 3214868480
	.section	.AMDGPU.gpr_maximums,"",@progbits
	.set amdgpu.max_num_vgpr, 0
	.set amdgpu.max_num_agpr, 0
	.set amdgpu.max_num_sgpr, 0
	.text
	.type	__hip_cuid_c00701943c85b8e5,@object ; @__hip_cuid_c00701943c85b8e5
	.section	.bss,"aw",@nobits
	.globl	__hip_cuid_c00701943c85b8e5
__hip_cuid_c00701943c85b8e5:
	.byte	0                               ; 0x0
	.size	__hip_cuid_c00701943c85b8e5, 1

	.ident	"AMD clang version 22.0.0git (https://github.com/RadeonOpenCompute/llvm-project roc-7.2.4 26084 f58b06dce1f9c15707c5f808fd002e18c2accf7e)"
	.section	".note.GNU-stack","",@progbits
	.addrsig
	.addrsig_sym __hip_cuid_c00701943c85b8e5
	.amdgpu_metadata
---
amdhsa.kernels:
  - .args:
      - .actual_access:  read_only
        .address_space:  global
        .offset:         0
        .size:           8
        .value_kind:     global_buffer
      - .actual_access:  read_only
        .address_space:  global
        .offset:         8
        .size:           8
        .value_kind:     global_buffer
      - .actual_access:  read_only
        .address_space:  global
        .offset:         16
        .size:           8
        .value_kind:     global_buffer
      - .actual_access:  read_only
        .address_space:  global
        .offset:         24
        .size:           8
        .value_kind:     global_buffer
      - .address_space:  global
        .offset:         32
        .size:           8
        .value_kind:     global_buffer
      - .address_space:  global
        .offset:         40
        .size:           8
        .value_kind:     global_buffer
      - .actual_access:  write_only
        .address_space:  global
        .offset:         48
        .size:           8
        .value_kind:     global_buffer
      - .address_space:  global
        .offset:         56
        .size:           8
        .value_kind:     global_buffer
      - .offset:         64
        .size:           4
        .value_kind:     by_value
      - .offset:         68
        .size:           4
        .value_kind:     by_value
      - .offset:         72
        .size:           4
        .value_kind:     by_value
      - .offset:         80
        .size:           4
        .value_kind:     hidden_block_count_x
      - .offset:         84
        .size:           4
        .value_kind:     hidden_block_count_y
      - .offset:         88
        .size:           4
        .value_kind:     hidden_block_count_z
      - .offset:         92
        .size:           2
        .value_kind:     hidden_group_size_x
      - .offset:         94
        .size:           2
        .value_kind:     hidden_group_size_y
      - .offset:         96
        .size:           2
        .value_kind:     hidden_group_size_z
      - .offset:         98
        .size:           2
        .value_kind:     hidden_remainder_x
      - .offset:         100
        .size:           2
        .value_kind:     hidden_remainder_y
      - .offset:         102
        .size:           2
        .value_kind:     hidden_remainder_z
      - .offset:         120
        .size:           8
        .value_kind:     hidden_global_offset_x
      - .offset:         128
        .size:           8
        .value_kind:     hidden_global_offset_y
      - .offset:         136
        .size:           8
        .value_kind:     hidden_global_offset_z
      - .offset:         144
        .size:           2
        .value_kind:     hidden_grid_dims
    .group_segment_fixed_size: 0
    .kernarg_segment_align: 8
    .kernarg_segment_size: 336
    .language:       OpenCL C
    .language_version:
      - 2
      - 0
    .max_flat_workgroup_size: 1024
    .name:           _Z15test_keystreamsPKcS0_S0_PKhPhS3_S3_S3_iii
    .private_segment_fixed_size: 144
    .sgpr_count:     21
    .sgpr_spill_count: 0
    .symbol:         _Z15test_keystreamsPKcS0_S0_PKhPhS3_S3_S3_iii.kd
    .uniform_work_group_size: 1
    .uses_dynamic_stack: false
    .vgpr_count:     62
    .vgpr_spill_count: 0
    .wavefront_size: 32
amdhsa.target:   amdgcn-amd-amdhsa--gfx1250
amdhsa.version:
  - 1
  - 2
...

	.end_amdgpu_metadata
